;; amdgpu-corpus repo=ROCm/rocFFT kind=compiled arch=gfx1100 opt=O3
	.text
	.amdgcn_target "amdgcn-amd-amdhsa--gfx1100"
	.amdhsa_code_object_version 6
	.protected	bluestein_single_fwd_len2401_dim1_sp_op_CI_CI ; -- Begin function bluestein_single_fwd_len2401_dim1_sp_op_CI_CI
	.globl	bluestein_single_fwd_len2401_dim1_sp_op_CI_CI
	.p2align	8
	.type	bluestein_single_fwd_len2401_dim1_sp_op_CI_CI,@function
bluestein_single_fwd_len2401_dim1_sp_op_CI_CI: ; @bluestein_single_fwd_len2401_dim1_sp_op_CI_CI
; %bb.0:
	s_load_b128 s[16:19], s[0:1], 0x28
	v_mul_u32_u24_e32 v1, 0x53a, v0
	s_mov_b32 s2, exec_lo
	v_mov_b32_e32 v2, 0
	s_delay_alu instid0(VALU_DEP_2) | instskip(NEXT) | instid1(VALU_DEP_1)
	v_lshrrev_b32_e32 v3, 16, v1
	v_add_nc_u32_e32 v1, s15, v3
	s_waitcnt lgkmcnt(0)
	s_delay_alu instid0(VALU_DEP_1)
	v_cmpx_gt_u64_e64 s[16:17], v[1:2]
	s_cbranch_execz .LBB0_2
; %bb.1:
	s_clause 0x2
	s_load_b128 s[4:7], s[0:1], 0x0
	s_load_b128 s[20:23], s[0:1], 0x18
	s_load_b64 s[12:13], s[0:1], 0x38
	v_mul_lo_u16 v2, v3, 49
	s_waitcnt lgkmcnt(0)
	s_load_b128 s[8:11], s[20:21], 0x0
	s_load_b128 s[0:3], s[22:23], 0x0
	s_delay_alu instid0(VALU_DEP_1) | instskip(SKIP_2) | instid1(VALU_DEP_1)
	v_sub_nc_u16 v98, v0, v2
	s_waitcnt lgkmcnt(0)
	v_mad_u64_u32 v[4:5], null, s2, v1, 0
	v_mov_b32_e32 v0, v5
	s_delay_alu instid0(VALU_DEP_1) | instskip(SKIP_2) | instid1(VALU_DEP_2)
	v_mad_u64_u32 v[2:3], null, s3, v1, v[0:1]
	v_and_b32_e32 v6, 0xffff, v98
	s_mul_hi_u32 s3, s8, 0xab8
	v_mov_b32_e32 v5, v2
	v_mad_u64_u32 v[2:3], null, s10, v1, 0
	s_delay_alu instid0(VALU_DEP_3)
	v_lshlrev_b32_e32 v110, 3, v6
	s_mul_hi_u32 s10, s8, 0xffffc138
	scratch_store_b64 off, v[4:5], off offset:336 ; 8-byte Folded Spill
	s_sub_i32 s10, s10, s8
	v_mov_b32_e32 v27, v6
	v_add_co_u32 v13, s2, s4, v110
	v_mov_b32_e32 v0, v3
	v_add_co_ci_u32_e64 v14, null, s5, 0, s2
	s_delay_alu instid0(VALU_DEP_3) | instskip(SKIP_1) | instid1(VALU_DEP_3)
	v_mov_b32_e32 v15, v13
	s_mul_i32 s2, s9, 0xab8
	v_mad_u64_u32 v[3:4], null, s11, v1, v[0:1]
	v_mad_u64_u32 v[0:1], null, s8, v6, 0
	s_add_i32 s2, s3, s2
	s_mul_i32 s3, s8, 0xab8
	v_mov_b32_e32 v16, v14
	s_mulk_i32 s8, 0xc138
	v_add_nc_u32_e32 v188, 0x800, v110
	v_add_nc_u32_e32 v200, 0x2000, v110
	s_delay_alu instid0(VALU_DEP_4)
	v_mad_u64_u32 v[4:5], null, s9, v6, v[1:2]
	v_lshlrev_b64 v[2:3], 3, v[2:3]
	s_mulk_i32 s9, 0xc138
	v_add_nc_u32_e32 v172, 0x4000, v110
	s_add_i32 s9, s10, s9
	v_add_nc_u32_e32 v204, 0x3800, v110
	v_add_co_u32 v121, null, v27, 49
	v_mov_b32_e32 v1, v4
	v_add_co_u32 v2, vcc_lo, s18, v2
	v_add_co_ci_u32_e32 v3, vcc_lo, s19, v3, vcc_lo
	s_delay_alu instid0(VALU_DEP_3)
	v_lshlrev_b64 v[0:1], 3, v[0:1]
	global_load_b64 v[4:5], v110, s[4:5]
	v_add_co_u32 v112, null, 0x62, v27
	v_add_co_u32 v128, null, 0x93, v27
	v_add_co_u32 v0, vcc_lo, v2, v0
	v_add_co_ci_u32_e32 v1, vcc_lo, v3, v1, vcc_lo
	v_add_co_u32 v129, null, 0xc4, v27
	v_add_co_u32 v130, null, 0xf5, v27
	global_load_b64 v[2:3], v[0:1], off
	v_add_co_u32 v0, vcc_lo, v0, s3
	v_add_co_ci_u32_e32 v1, vcc_lo, s2, v1, vcc_lo
	v_add_co_u32 v213, null, 0x126, v27
	v_add_nc_u32_e32 v203, 0x1800, v110
	v_add_nc_u32_e32 v201, 0x2800, v110
	v_mov_b32_e32 v131, v27
	s_waitcnt vmcnt(1)
	scratch_store_b64 off, v[4:5], off offset:344 ; 8-byte Folded Spill
	s_waitcnt vmcnt(0)
	v_mul_f32_e32 v6, v3, v5
	s_delay_alu instid0(VALU_DEP_1) | instskip(SKIP_1) | instid1(VALU_DEP_1)
	v_fmac_f32_e32 v6, v2, v4
	v_mul_f32_e32 v2, v2, v5
	v_fma_f32 v7, v3, v4, -v2
	global_load_b64 v[2:3], v[0:1], off
	global_load_b64 v[8:9], v110, s[4:5] offset:2744
	v_add_co_u32 v0, vcc_lo, v0, s3
	v_add_co_ci_u32_e32 v1, vcc_lo, s2, v1, vcc_lo
	s_waitcnt vmcnt(0)
	v_mul_f32_e32 v4, v3, v9
	scratch_store_b64 off, v[8:9], off offset:352 ; 8-byte Folded Spill
	v_fmac_f32_e32 v4, v2, v8
	v_mul_f32_e32 v2, v2, v9
	s_delay_alu instid0(VALU_DEP_1)
	v_fma_f32 v5, v3, v8, -v2
	global_load_b64 v[2:3], v[0:1], off
	ds_store_b64 v110, v[4:5] offset:2744
	v_add_co_u32 v4, vcc_lo, 0x1000, v13
	v_add_co_ci_u32_e32 v5, vcc_lo, 0, v14, vcc_lo
	v_add_co_u32 v0, vcc_lo, v0, s3
	v_add_co_ci_u32_e32 v1, vcc_lo, s2, v1, vcc_lo
	global_load_b64 v[9:10], v[4:5], off offset:1392
	s_waitcnt vmcnt(0)
	v_mul_f32_e32 v8, v3, v10
	scratch_store_b64 off, v[9:10], off offset:360 ; 8-byte Folded Spill
	v_fmac_f32_e32 v8, v2, v9
	v_mul_f32_e32 v2, v2, v10
	s_delay_alu instid0(VALU_DEP_1)
	v_fma_f32 v9, v3, v9, -v2
	v_add_co_u32 v2, vcc_lo, 0x2000, v13
	v_add_co_ci_u32_e32 v3, vcc_lo, 0, v14, vcc_lo
	ds_store_b64 v110, v[8:9] offset:5488
	global_load_b64 v[8:9], v[0:1], off
	v_add_co_u32 v0, vcc_lo, v0, s3
	global_load_b64 v[11:12], v[2:3], off offset:40
	v_add_co_ci_u32_e32 v1, vcc_lo, s2, v1, vcc_lo
	s_waitcnt vmcnt(0)
	v_mul_f32_e32 v10, v9, v12
	scratch_store_b64 off, v[11:12], off offset:376 ; 8-byte Folded Spill
	v_fmac_f32_e32 v10, v8, v11
	v_mul_f32_e32 v8, v8, v12
	s_delay_alu instid0(VALU_DEP_1)
	v_fma_f32 v11, v9, v11, -v8
	ds_store_b64 v110, v[10:11] offset:8232
	global_load_b64 v[8:9], v[0:1], off
	global_load_b64 v[11:12], v[2:3], off offset:2784
	s_clause 0x1
	scratch_store_b32 off, v15, off offset:928
	scratch_store_b32 off, v16, off offset:936
	s_waitcnt vmcnt(0)
	v_mul_f32_e32 v10, v9, v12
	scratch_store_b64 off, v[11:12], off offset:368 ; 8-byte Folded Spill
	v_fmac_f32_e32 v10, v8, v11
	v_mul_f32_e32 v8, v8, v12
	s_delay_alu instid0(VALU_DEP_1)
	v_fma_f32 v11, v9, v11, -v8
	v_add_co_u32 v8, vcc_lo, v0, s3
	v_add_co_ci_u32_e32 v9, vcc_lo, s2, v1, vcc_lo
	v_add_co_u32 v0, vcc_lo, 0x3000, v15
	v_add_co_ci_u32_e32 v1, vcc_lo, 0, v16, vcc_lo
	ds_store_b64 v110, v[10:11] offset:10976
	global_load_b64 v[10:11], v[8:9], off
	v_add_co_u32 v8, vcc_lo, v8, s3
	global_load_b64 v[13:14], v[0:1], off offset:1432
	v_add_co_ci_u32_e32 v9, vcc_lo, s2, v9, vcc_lo
	v_add_co_u32 v17, vcc_lo, 0x4000, v15
	v_add_co_ci_u32_e32 v18, vcc_lo, 0, v16, vcc_lo
	s_delay_alu instid0(VALU_DEP_1)
	v_dual_mov_b32 v29, v18 :: v_dual_mov_b32 v28, v17
	s_waitcnt vmcnt(0)
	v_mul_f32_e32 v12, v11, v14
	scratch_store_b64 off, v[13:14], off offset:384 ; 8-byte Folded Spill
	v_fmac_f32_e32 v12, v10, v13
	v_mul_f32_e32 v10, v10, v14
	s_delay_alu instid0(VALU_DEP_1)
	v_fma_f32 v13, v11, v13, -v10
	global_load_b64 v[10:11], v[8:9], off
	v_add_co_u32 v8, vcc_lo, v8, s8
	v_add_co_ci_u32_e32 v9, vcc_lo, s9, v9, vcc_lo
	ds_store_b64 v110, v[12:13] offset:13720
	global_load_b64 v[13:14], v[17:18], off offset:80
	s_waitcnt vmcnt(0)
	v_mul_f32_e32 v12, v11, v14
	scratch_store_b64 off, v[13:14], off offset:392 ; 8-byte Folded Spill
	v_fmac_f32_e32 v12, v10, v13
	v_mul_f32_e32 v10, v10, v14
	s_delay_alu instid0(VALU_DEP_1)
	v_fma_f32 v13, v11, v13, -v10
	ds_store_b64 v110, v[12:13] offset:16464
	global_load_b64 v[10:11], v[8:9], off
	global_load_b64 v[13:14], v110, s[4:5] offset:392
	s_waitcnt vmcnt(0)
	v_mul_f32_e32 v12, v11, v14
	scratch_store_b64 off, v[13:14], off offset:328 ; 8-byte Folded Spill
	v_fmac_f32_e32 v12, v10, v13
	v_mul_f32_e32 v10, v10, v14
	s_delay_alu instid0(VALU_DEP_1)
	v_fma_f32 v13, v11, v13, -v10
	ds_store_2addr_b64 v110, v[6:7], v[12:13] offset1:49
	v_add_co_u32 v6, vcc_lo, v8, s3
	v_add_co_ci_u32_e32 v7, vcc_lo, s2, v9, vcc_lo
	global_load_b64 v[8:9], v[6:7], off
	global_load_b64 v[11:12], v110, s[4:5] offset:3136
	v_add_co_u32 v6, vcc_lo, v6, s3
	v_add_co_ci_u32_e32 v7, vcc_lo, s2, v7, vcc_lo
	s_waitcnt vmcnt(0)
	v_mul_f32_e32 v10, v9, v12
	scratch_store_b64 off, v[11:12], off offset:320 ; 8-byte Folded Spill
	v_fmac_f32_e32 v10, v8, v11
	v_mul_f32_e32 v8, v8, v12
	s_delay_alu instid0(VALU_DEP_1)
	v_fma_f32 v11, v9, v11, -v8
	global_load_b64 v[8:9], v[6:7], off
	global_load_b64 v[13:14], v[4:5], off offset:1784
	v_add_co_u32 v6, vcc_lo, v6, s3
	v_add_co_ci_u32_e32 v7, vcc_lo, s2, v7, vcc_lo
	s_waitcnt vmcnt(0)
	v_mul_f32_e32 v12, v9, v14
	scratch_store_b64 off, v[13:14], off offset:312 ; 8-byte Folded Spill
	v_fmac_f32_e32 v12, v8, v13
	v_mul_f32_e32 v8, v8, v14
	s_delay_alu instid0(VALU_DEP_1)
	v_fma_f32 v13, v9, v13, -v8
	global_load_b64 v[8:9], v[6:7], off
	global_load_b64 v[15:16], v[2:3], off offset:432
	;; [unrolled: 11-line block ×5, first 2 shown]
	v_add_co_u32 v6, vcc_lo, v6, s8
	v_add_co_ci_u32_e32 v7, vcc_lo, s9, v7, vcc_lo
	s_waitcnt vmcnt(0)
	v_mul_f32_e32 v20, v9, v22
	scratch_store_b64 off, v[21:22], off offset:208 ; 8-byte Folded Spill
	v_fmac_f32_e32 v20, v8, v21
	v_mul_f32_e32 v8, v8, v22
	s_delay_alu instid0(VALU_DEP_1)
	v_fma_f32 v21, v9, v21, -v8
	global_load_b64 v[8:9], v[6:7], off
	global_load_b64 v[23:24], v110, s[4:5] offset:784
	v_add_co_u32 v6, vcc_lo, v6, s3
	v_add_co_ci_u32_e32 v7, vcc_lo, s2, v7, vcc_lo
	s_waitcnt vmcnt(0)
	v_mul_f32_e32 v22, v9, v24
	scratch_store_b64 off, v[23:24], off offset:200 ; 8-byte Folded Spill
	v_fmac_f32_e32 v22, v8, v23
	v_mul_f32_e32 v8, v8, v24
	s_delay_alu instid0(VALU_DEP_1)
	v_fma_f32 v23, v9, v23, -v8
	global_load_b64 v[8:9], v[6:7], off
	global_load_b64 v[25:26], v110, s[4:5] offset:3528
	v_add_co_u32 v6, vcc_lo, v6, s3
	v_add_co_ci_u32_e32 v7, vcc_lo, s2, v7, vcc_lo
	s_waitcnt vmcnt(0)
	v_mul_f32_e32 v24, v9, v26
	scratch_store_b64 off, v[25:26], off offset:248 ; 8-byte Folded Spill
	v_fmac_f32_e32 v24, v8, v25
	v_mul_f32_e32 v8, v8, v26
	s_delay_alu instid0(VALU_DEP_1)
	v_fma_f32 v25, v9, v25, -v8
	ds_store_2addr_b64 v188, v[10:11], v[24:25] offset0:136 offset1:185
	global_load_b64 v[8:9], v[6:7], off
	global_load_b64 v[24:25], v[4:5], off offset:2176
	v_add_co_u32 v6, vcc_lo, v6, s3
	v_add_co_ci_u32_e32 v7, vcc_lo, s2, v7, vcc_lo
	s_waitcnt vmcnt(0)
	v_mul_f32_e32 v10, v9, v25
	scratch_store_b64 off, v[24:25], off offset:288 ; 8-byte Folded Spill
	v_fmac_f32_e32 v10, v8, v24
	v_mul_f32_e32 v8, v8, v25
	s_delay_alu instid0(VALU_DEP_1)
	v_fma_f32 v11, v9, v24, -v8
	v_add_nc_u32_e32 v8, 0x1400, v110
	ds_store_2addr_b64 v8, v[12:13], v[10:11] offset0:95 offset1:144
	global_load_b64 v[8:9], v[6:7], off
	global_load_b64 v[11:12], v[2:3], off offset:824
	v_add_co_u32 v6, vcc_lo, v6, s3
	v_add_co_ci_u32_e32 v7, vcc_lo, s2, v7, vcc_lo
	s_waitcnt vmcnt(0)
	v_mul_f32_e32 v10, v9, v12
	scratch_store_b64 off, v[11:12], off offset:256 ; 8-byte Folded Spill
	v_fmac_f32_e32 v10, v8, v11
	v_mul_f32_e32 v8, v8, v12
	s_delay_alu instid0(VALU_DEP_1)
	v_fma_f32 v11, v9, v11, -v8
	ds_store_2addr_b64 v200, v[14:15], v[10:11] offset0:54 offset1:103
	global_load_b64 v[8:9], v[6:7], off
	global_load_b64 v[11:12], v[2:3], off offset:3568
	v_add_co_u32 v6, vcc_lo, v6, s3
	v_add_co_ci_u32_e32 v7, vcc_lo, s2, v7, vcc_lo
	s_waitcnt vmcnt(0)
	v_mul_f32_e32 v10, v9, v12
	scratch_store_b64 off, v[11:12], off offset:264 ; 8-byte Folded Spill
	v_fmac_f32_e32 v10, v8, v11
	v_mul_f32_e32 v8, v8, v12
	s_delay_alu instid0(VALU_DEP_1)
	v_fma_f32 v11, v9, v11, -v8
	;; [unrolled: 12-line block ×3, first 2 shown]
	v_add_nc_u32_e32 v8, 0x3400, v110
	ds_store_2addr_b64 v8, v[18:19], v[10:11] offset0:100 offset1:149
	v_mov_b32_e32 v30, v8
	global_load_b64 v[8:9], v[6:7], off
	global_load_b64 v[11:12], v[28:29], off offset:864
	v_add_co_u32 v6, vcc_lo, v6, s8
	v_add_co_ci_u32_e32 v7, vcc_lo, s9, v7, vcc_lo
	v_mov_b32_e32 v113, v30
	s_delay_alu instid0(VALU_DEP_1)
	v_mov_b32_e32 v202, v113
	s_waitcnt vmcnt(0)
	v_mul_f32_e32 v10, v9, v12
	scratch_store_b64 off, v[11:12], off offset:176 ; 8-byte Folded Spill
	v_fmac_f32_e32 v10, v8, v11
	v_mul_f32_e32 v8, v8, v12
	s_delay_alu instid0(VALU_DEP_1)
	v_fma_f32 v11, v9, v11, -v8
	ds_store_2addr_b64 v172, v[20:21], v[10:11] offset0:59 offset1:108
	global_load_b64 v[8:9], v[6:7], off
	global_load_b64 v[11:12], v110, s[4:5] offset:1176
	v_add_co_u32 v6, vcc_lo, v6, s3
	v_add_co_ci_u32_e32 v7, vcc_lo, s2, v7, vcc_lo
	s_waitcnt vmcnt(0)
	v_mul_f32_e32 v10, v9, v12
	scratch_store_b64 off, v[11:12], off offset:240 ; 8-byte Folded Spill
	v_fmac_f32_e32 v10, v8, v11
	v_mul_f32_e32 v8, v8, v12
	s_delay_alu instid0(VALU_DEP_1)
	v_fma_f32 v11, v9, v11, -v8
	ds_store_2addr_b64 v110, v[22:23], v[10:11] offset0:98 offset1:147
	global_load_b64 v[8:9], v[6:7], off
	global_load_b64 v[11:12], v110, s[4:5] offset:3920
	v_add_co_u32 v6, vcc_lo, v6, s3
	v_add_co_ci_u32_e32 v7, vcc_lo, s2, v7, vcc_lo
	s_waitcnt vmcnt(0)
	v_mul_f32_e32 v10, v9, v12
	scratch_store_b64 off, v[11:12], off offset:232 ; 8-byte Folded Spill
	v_fmac_f32_e32 v10, v8, v11
	v_mul_f32_e32 v8, v8, v12
	s_delay_alu instid0(VALU_DEP_1)
	v_fma_f32 v11, v9, v11, -v8
	global_load_b64 v[8:9], v[6:7], off
	global_load_b64 v[13:14], v[4:5], off offset:2568
	v_add_co_u32 v6, vcc_lo, v6, s3
	v_add_co_ci_u32_e32 v7, vcc_lo, s2, v7, vcc_lo
	s_waitcnt vmcnt(0)
	v_mul_f32_e32 v12, v9, v14
	scratch_store_b64 off, v[13:14], off offset:192 ; 8-byte Folded Spill
	v_fmac_f32_e32 v12, v8, v13
	v_mul_f32_e32 v8, v8, v14
	s_delay_alu instid0(VALU_DEP_1)
	v_fma_f32 v13, v9, v13, -v8
	global_load_b64 v[8:9], v[6:7], off
	global_load_b64 v[15:16], v[2:3], off offset:1216
	;; [unrolled: 11-line block ×5, first 2 shown]
	v_add_co_u32 v6, vcc_lo, v6, s8
	v_add_co_ci_u32_e32 v7, vcc_lo, s9, v7, vcc_lo
	s_waitcnt vmcnt(0)
	v_mul_f32_e32 v20, v9, v22
	scratch_store_b64 off, v[21:22], off offset:160 ; 8-byte Folded Spill
	v_fmac_f32_e32 v20, v8, v21
	v_mul_f32_e32 v8, v8, v22
	s_delay_alu instid0(VALU_DEP_1)
	v_fma_f32 v21, v9, v21, -v8
	global_load_b64 v[8:9], v[6:7], off
	global_load_b64 v[23:24], v110, s[4:5] offset:1568
	v_add_co_u32 v6, vcc_lo, v6, s3
	v_add_co_ci_u32_e32 v7, vcc_lo, s2, v7, vcc_lo
	s_waitcnt vmcnt(0)
	v_mul_f32_e32 v22, v9, v24
	scratch_store_b64 off, v[23:24], off offset:168 ; 8-byte Folded Spill
	v_fmac_f32_e32 v22, v8, v23
	v_mul_f32_e32 v8, v8, v24
	s_delay_alu instid0(VALU_DEP_1)
	v_fma_f32 v23, v9, v23, -v8
	global_load_b64 v[8:9], v[6:7], off
	global_load_b64 v[25:26], v[4:5], off offset:216
	v_add_co_u32 v6, vcc_lo, v6, s3
	v_add_co_ci_u32_e32 v7, vcc_lo, s2, v7, vcc_lo
	s_waitcnt vmcnt(0)
	v_mul_f32_e32 v24, v9, v26
	scratch_store_b64 off, v[25:26], off offset:144 ; 8-byte Folded Spill
	v_fmac_f32_e32 v24, v8, v25
	v_mul_f32_e32 v8, v8, v26
	s_delay_alu instid0(VALU_DEP_1)
	v_fma_f32 v25, v9, v25, -v8
	v_add_nc_u32_e32 v8, 0xc00, v110
	ds_store_2addr_b64 v8, v[10:11], v[24:25] offset0:106 offset1:155
	v_mov_b32_e32 v26, v8
	global_load_b64 v[8:9], v[6:7], off
	global_load_b64 v[24:25], v[4:5], off offset:2960
	v_add_co_u32 v6, vcc_lo, v6, s3
	v_add_co_ci_u32_e32 v7, vcc_lo, s2, v7, vcc_lo
	v_mov_b32_e32 v114, v26
	s_waitcnt vmcnt(0)
	v_mul_f32_e32 v10, v9, v25
	scratch_store_b64 off, v[24:25], off offset:152 ; 8-byte Folded Spill
	v_fmac_f32_e32 v10, v8, v24
	v_mul_f32_e32 v8, v8, v25
	s_delay_alu instid0(VALU_DEP_1)
	v_fma_f32 v11, v9, v24, -v8
	ds_store_2addr_b64 v203, v[12:13], v[10:11] offset0:65 offset1:114
	global_load_b64 v[8:9], v[6:7], off
	global_load_b64 v[11:12], v[2:3], off offset:1608
	v_add_co_u32 v6, vcc_lo, v6, s3
	v_add_co_ci_u32_e32 v7, vcc_lo, s2, v7, vcc_lo
	s_waitcnt vmcnt(0)
	v_mul_f32_e32 v10, v9, v12
	scratch_store_b64 off, v[11:12], off offset:128 ; 8-byte Folded Spill
	v_fmac_f32_e32 v10, v8, v11
	v_mul_f32_e32 v8, v8, v12
	s_delay_alu instid0(VALU_DEP_1)
	v_fma_f32 v11, v9, v11, -v8
	ds_store_2addr_b64 v200, v[14:15], v[10:11] offset0:152 offset1:201
	global_load_b64 v[8:9], v[6:7], off
	global_load_b64 v[11:12], v[0:1], off offset:256
	v_add_co_u32 v6, vcc_lo, v6, s3
	v_add_co_ci_u32_e32 v7, vcc_lo, s2, v7, vcc_lo
	s_waitcnt vmcnt(0)
	v_mul_f32_e32 v10, v9, v12
	scratch_store_b64 off, v[11:12], off offset:136 ; 8-byte Folded Spill
	v_fmac_f32_e32 v10, v8, v11
	v_mul_f32_e32 v8, v8, v12
	s_delay_alu instid0(VALU_DEP_1)
	v_fma_f32 v11, v9, v11, -v8
	v_add_nc_u32_e32 v8, 0x2c00, v110
	ds_store_2addr_b64 v8, v[16:17], v[10:11] offset0:111 offset1:160
	global_load_b64 v[8:9], v[6:7], off
	global_load_b64 v[11:12], v[0:1], off offset:3000
	v_add_co_u32 v6, vcc_lo, v6, s3
	v_add_co_ci_u32_e32 v7, vcc_lo, s2, v7, vcc_lo
	s_waitcnt vmcnt(0)
	v_mul_f32_e32 v10, v9, v12
	scratch_store_b64 off, v[11:12], off offset:104 ; 8-byte Folded Spill
	v_fmac_f32_e32 v10, v8, v11
	v_mul_f32_e32 v8, v8, v12
	s_delay_alu instid0(VALU_DEP_1)
	v_fma_f32 v11, v9, v11, -v8
	ds_store_2addr_b64 v204, v[18:19], v[10:11] offset0:70 offset1:119
	global_load_b64 v[8:9], v[6:7], off
	global_load_b64 v[11:12], v[28:29], off offset:1648
	v_add_co_u32 v6, vcc_lo, v6, s8
	v_add_co_ci_u32_e32 v7, vcc_lo, s9, v7, vcc_lo
	s_waitcnt vmcnt(0)
	v_mul_f32_e32 v10, v9, v12
	scratch_store_b64 off, v[11:12], off offset:120 ; 8-byte Folded Spill
	v_fmac_f32_e32 v10, v8, v11
	v_mul_f32_e32 v8, v8, v12
	s_delay_alu instid0(VALU_DEP_1)
	v_fma_f32 v11, v9, v11, -v8
	ds_store_2addr_b64 v172, v[20:21], v[10:11] offset0:157 offset1:206
	global_load_b64 v[8:9], v[6:7], off
	global_load_b64 v[11:12], v110, s[4:5] offset:1960
	v_add_co_u32 v6, vcc_lo, v6, s3
	v_add_co_ci_u32_e32 v7, vcc_lo, s2, v7, vcc_lo
	s_waitcnt vmcnt(0)
	v_mul_f32_e32 v10, v9, v12
	scratch_store_b64 off, v[11:12], off offset:96 ; 8-byte Folded Spill
	v_fmac_f32_e32 v10, v8, v11
	v_mul_f32_e32 v8, v8, v12
	s_delay_alu instid0(VALU_DEP_1)
	v_fma_f32 v11, v9, v11, -v8
	ds_store_2addr_b64 v110, v[22:23], v[10:11] offset0:196 offset1:245
	global_load_b64 v[8:9], v[6:7], off
	global_load_b64 v[11:12], v[4:5], off offset:608
	v_add_co_u32 v6, vcc_lo, v6, s3
	v_add_co_ci_u32_e32 v7, vcc_lo, s2, v7, vcc_lo
	s_waitcnt vmcnt(0)
	v_mul_f32_e32 v10, v9, v12
	scratch_store_b64 off, v[11:12], off offset:112 ; 8-byte Folded Spill
	v_fmac_f32_e32 v10, v8, v11
	v_mul_f32_e32 v8, v8, v12
	s_delay_alu instid0(VALU_DEP_1)
	v_fma_f32 v11, v9, v11, -v8
	global_load_b64 v[8:9], v[6:7], off
	global_load_b64 v[13:14], v[4:5], off offset:3352
	v_add_co_u32 v6, vcc_lo, v6, s3
	v_add_co_ci_u32_e32 v7, vcc_lo, s2, v7, vcc_lo
	s_waitcnt vmcnt(0)
	v_mul_f32_e32 v12, v9, v14
	scratch_store_b64 off, v[13:14], off offset:80 ; 8-byte Folded Spill
	v_fmac_f32_e32 v12, v8, v13
	v_mul_f32_e32 v8, v8, v14
	s_delay_alu instid0(VALU_DEP_1)
	v_fma_f32 v13, v9, v13, -v8
	;; [unrolled: 11-line block ×5, first 2 shown]
	global_load_b64 v[8:9], v[6:7], off
	global_load_b64 v[21:22], v[28:29], off offset:2040
	v_add_co_u32 v6, vcc_lo, v6, s8
	v_add_co_ci_u32_e32 v7, vcc_lo, s9, v7, vcc_lo
	scratch_store_b64 off, v[28:29], off offset:972 ; 8-byte Folded Spill
	s_waitcnt vmcnt(0)
	scratch_store_b64 off, v[21:22], off offset:56 ; 8-byte Folded Spill
	v_mul_f32_e32 v20, v9, v22
	scratch_store_b32 off, v131, off offset:400 ; 4-byte Folded Spill
	v_fmac_f32_e32 v20, v8, v21
	v_mul_f32_e32 v8, v8, v22
	s_delay_alu instid0(VALU_DEP_1)
	v_fma_f32 v21, v9, v21, -v8
	global_load_b64 v[8:9], v[6:7], off
	global_load_b64 v[23:24], v110, s[4:5] offset:2352
	v_add_co_u32 v6, vcc_lo, v6, s3
	v_add_co_ci_u32_e32 v7, vcc_lo, s2, v7, vcc_lo
	s_mul_i32 s4, s1, 0xab8
	s_mul_hi_u32 s5, s0, 0xab8
	s_delay_alu instid0(SALU_CYCLE_1)
	s_add_i32 s4, s5, s4
	s_mul_i32 s5, s0, 0xab8
	s_waitcnt vmcnt(0)
	v_mul_f32_e32 v22, v9, v24
	scratch_store_b64 off, v[23:24], off offset:24 ; 8-byte Folded Spill
	v_fmac_f32_e32 v22, v8, v23
	v_mul_f32_e32 v8, v8, v24
	s_delay_alu instid0(VALU_DEP_1)
	v_fma_f32 v23, v9, v23, -v8
	ds_store_b64 v110, v[22:23] offset:2352
	global_load_b64 v[8:9], v[6:7], off
	global_load_b64 v[23:24], v[4:5], off offset:1000
	v_add_co_u32 v6, vcc_lo, v6, s3
	v_add_co_ci_u32_e32 v7, vcc_lo, s2, v7, vcc_lo
	s_waitcnt vmcnt(0)
	v_mul_f32_e32 v22, v9, v24
	scratch_store_b64 off, v[23:24], off offset:16 ; 8-byte Folded Spill
	v_fmac_f32_e32 v22, v8, v23
	v_mul_f32_e32 v8, v8, v24
	s_delay_alu instid0(VALU_DEP_1)
	v_fma_f32 v23, v9, v23, -v8
	v_add_nc_u32_e32 v8, 0x1000, v110
	ds_store_2addr_b64 v8, v[10:11], v[22:23] offset0:76 offset1:125
	v_mov_b32_e32 v189, v8
	global_load_b64 v[8:9], v[6:7], off
	global_load_b64 v[10:11], v[4:5], off offset:3744
	s_waitcnt vmcnt(0)
	v_mul_f32_e32 v4, v9, v11
	v_mul_f32_e32 v5, v8, v11
	scratch_store_b64 off, v[10:11], off offset:8 ; 8-byte Folded Spill
	v_fmac_f32_e32 v4, v8, v10
	v_fma_f32 v5, v9, v10, -v5
	ds_store_2addr_b64 v203, v[12:13], v[4:5] offset0:163 offset1:212
	v_add_co_u32 v4, vcc_lo, v6, s3
	v_add_co_ci_u32_e32 v5, vcc_lo, s2, v7, vcc_lo
	global_load_b64 v[6:7], v[4:5], off
	global_load_b64 v[8:9], v[2:3], off offset:2392
	s_waitcnt vmcnt(0)
	v_mul_f32_e32 v2, v7, v9
	v_mul_f32_e32 v3, v6, v9
	scratch_store_b64 off, v[8:9], off offset:32 ; 8-byte Folded Spill
	v_fmac_f32_e32 v2, v6, v8
	v_fma_f32 v3, v7, v8, -v3
	v_add_nc_u32_e32 v6, 0x2400, v110
	ds_store_2addr_b64 v6, v[14:15], v[2:3] offset0:122 offset1:171
	v_add_co_u32 v2, vcc_lo, v4, s3
	v_add_co_ci_u32_e32 v3, vcc_lo, s2, v5, vcc_lo
	global_load_b64 v[4:5], v[2:3], off
	global_load_b64 v[7:8], v[0:1], off offset:1040
	v_mov_b32_e32 v84, v6
	v_add_co_u32 v2, vcc_lo, v2, s3
	v_add_co_ci_u32_e32 v3, vcc_lo, s2, v3, vcc_lo
	s_delay_alu instid0(VALU_DEP_3) | instskip(SKIP_1) | instid1(VALU_DEP_1)
	v_mov_b32_e32 v111, v84
	s_waitcnt vmcnt(0)
	v_dual_mov_b32 v191, v111 :: v_dual_mul_f32 v6, v5, v8
	scratch_store_b64 off, v[7:8], off offset:40 ; 8-byte Folded Spill
	v_fmac_f32_e32 v6, v4, v7
	v_mul_f32_e32 v4, v4, v8
	v_add_nc_u32_e32 v8, 0x1c00, v110
	s_delay_alu instid0(VALU_DEP_2) | instskip(NEXT) | instid1(VALU_DEP_2)
	v_fma_f32 v7, v5, v7, -v4
	v_dual_mov_b32 v109, v8 :: v_dual_add_nc_u32 v4, 0x3000, v110
	ds_store_2addr_b64 v4, v[16:17], v[6:7] offset0:81 offset1:130
	v_mov_b32_e32 v205, v4
	global_load_b64 v[4:5], v[2:3], off
	global_load_b64 v[6:7], v[0:1], off offset:3784
	s_waitcnt vmcnt(0)
	v_mul_f32_e32 v0, v5, v7
	v_mul_f32_e32 v1, v4, v7
	scratch_store_b64 off, v[6:7], off offset:48 ; 8-byte Folded Spill
	v_fmac_f32_e32 v0, v4, v6
	v_fma_f32 v1, v5, v6, -v1
	ds_store_2addr_b64 v204, v[18:19], v[0:1] offset0:168 offset1:217
	v_add_co_u32 v0, vcc_lo, v2, s3
	v_add_co_ci_u32_e32 v1, vcc_lo, s2, v3, vcc_lo
	global_load_b64 v[0:1], v[0:1], off
	global_load_b64 v[3:4], v[28:29], off offset:2432
	s_waitcnt vmcnt(0)
	v_mul_f32_e32 v2, v1, v4
	scratch_store_b64 off, v[3:4], off      ; 8-byte Folded Spill
	v_fmac_f32_e32 v2, v0, v3
	v_mul_f32_e32 v0, v0, v4
	s_delay_alu instid0(VALU_DEP_1)
	v_fma_f32 v3, v1, v3, -v0
	v_add_nc_u32_e32 v0, 0x4400, v110
	ds_store_2addr_b64 v0, v[20:21], v[2:3] offset0:127 offset1:176
	s_waitcnt lgkmcnt(0)
	s_waitcnt_vscnt null, 0x0
	s_barrier
	buffer_gl0_inv
	ds_load_2addr_b64 v[64:67], v110 offset1:49
	ds_load_2addr_b64 v[0:3], v188 offset0:38 offset1:87
	ds_load_2addr_b64 v[76:79], v189 offset0:174 offset1:223
	;; [unrolled: 1-line block ×22, first 2 shown]
	s_waitcnt lgkmcnt(16)
	v_add_f32_e32 v84, v2, v80
	v_sub_f32_e32 v2, v2, v80
	v_dual_add_f32 v80, v76, v10 :: v_dual_add_f32 v85, v3, v81
	v_sub_f32_e32 v3, v3, v81
	v_dual_add_f32 v81, v77, v11 :: v_dual_sub_f32 v10, v76, v10
	v_add_f32_e32 v76, v6, v72
	v_sub_f32_e32 v6, v72, v6
	v_dual_add_f32 v72, v80, v84 :: v_dual_sub_f32 v11, v77, v11
	v_add_f32_e32 v77, v7, v73
	v_sub_f32_e32 v7, v73, v7
	v_add_f32_e32 v73, v81, v85
	s_delay_alu instid0(VALU_DEP_4)
	v_dual_add_f32 v103, v6, v10 :: v_dual_add_f32 v72, v76, v72
	v_sub_f32_e32 v86, v80, v84
	v_sub_f32_e32 v84, v84, v76
	;; [unrolled: 1-line block ×3, first 2 shown]
	v_dual_add_f32 v104, v7, v11 :: v_dual_sub_f32 v105, v6, v10
	v_sub_f32_e32 v6, v2, v6
	v_dual_sub_f32 v10, v10, v2 :: v_dual_add_f32 v73, v77, v73
	v_add_f32_e32 v76, v103, v2
	v_dual_add_f32 v2, v72, v64 :: v_dual_sub_f32 v87, v81, v85
	v_sub_f32_e32 v85, v85, v77
	v_dual_sub_f32 v81, v77, v81 :: v_dual_sub_f32 v106, v7, v11
	v_sub_f32_e32 v7, v3, v7
	v_sub_f32_e32 v11, v11, v3
	v_add_f32_e32 v77, v104, v3
	v_add_f32_e32 v3, v73, v65
	v_dual_mov_b32 v107, v2 :: v_dual_mul_f32 v64, 0x3f4a47b2, v84
	v_mul_f32_e32 v65, 0x3f4a47b2, v85
	v_dual_mul_f32 v84, 0x3d64c772, v80 :: v_dual_mul_f32 v85, 0x3d64c772, v81
	v_dual_mul_f32 v103, 0xbf08b237, v105 :: v_dual_mul_f32 v104, 0xbf08b237, v106
	v_mul_f32_e32 v106, 0xbf5ff5aa, v11
	v_dual_fmac_f32 v107, 0xbf955555, v72 :: v_dual_mov_b32 v72, v3
	v_mul_f32_e32 v105, 0xbf5ff5aa, v10
	s_delay_alu instid0(VALU_DEP_3) | instskip(NEXT) | instid1(VALU_DEP_3)
	v_fmac_f32_e32 v106, 0xbeae86e6, v7
	v_fmac_f32_e32 v72, 0xbf955555, v73
	v_dual_fmamk_f32 v73, v80, 0x3d64c772, v64 :: v_dual_fmamk_f32 v80, v81, 0x3d64c772, v65
	v_fma_f32 v81, 0x3f3bfb3b, v86, -v84
	v_fma_f32 v84, 0x3f3bfb3b, v87, -v85
	;; [unrolled: 1-line block ×4, first 2 shown]
	v_dual_fmamk_f32 v85, v6, 0x3eae86e6, v103 :: v_dual_fmamk_f32 v86, v7, 0x3eae86e6, v104
	v_fma_f32 v87, 0x3f5ff5aa, v10, -v103
	v_fma_f32 v103, 0x3f5ff5aa, v11, -v104
	v_dual_fmac_f32 v105, 0xbeae86e6, v6 :: v_dual_add_f32 v104, v73, v107
	v_add_f32_e32 v6, v81, v107
	v_add_f32_e32 v64, v64, v107
	v_fmac_f32_e32 v86, 0x3ee1c552, v77
	v_fmac_f32_e32 v103, 0x3ee1c552, v77
	;; [unrolled: 1-line block ×3, first 2 shown]
	v_add_f32_e32 v108, v80, v72
	v_add_f32_e32 v7, v84, v72
	;; [unrolled: 1-line block ×3, first 2 shown]
	v_fmac_f32_e32 v85, 0x3ee1c552, v76
	v_fmac_f32_e32 v87, 0x3ee1c552, v76
	v_dual_fmac_f32 v105, 0x3ee1c552, v76 :: v_dual_add_f32 v76, v104, v86
	v_add_f32_e32 v80, v106, v64
	v_sub_f32_e32 v10, v6, v103
	v_add_f32_e32 v72, v103, v6
	v_sub_f32_e32 v6, v64, v106
	v_sub_f32_e32 v64, v104, v86
	s_waitcnt lgkmcnt(15)
	v_add_f32_e32 v84, v88, v82
	s_waitcnt lgkmcnt(13)
	v_dual_add_f32 v86, v78, v99 :: v_dual_sub_f32 v77, v108, v85
	v_sub_f32_e32 v81, v65, v105
	v_add_f32_e32 v11, v87, v7
	v_sub_f32_e32 v73, v7, v87
	v_add_f32_e32 v7, v105, v65
	v_add_f32_e32 v65, v85, v108
	v_dual_add_f32 v85, v89, v83 :: v_dual_sub_f32 v82, v88, v82
	v_dual_add_f32 v87, v79, v100 :: v_dual_add_f32 v88, v92, v74
	v_sub_f32_e32 v74, v74, v92
	v_dual_add_f32 v92, v86, v84 :: v_dual_sub_f32 v83, v89, v83
	v_sub_f32_e32 v78, v78, v99
	v_add_f32_e32 v89, v93, v75
	v_sub_f32_e32 v75, v75, v93
	v_add_f32_e32 v93, v87, v85
	v_sub_f32_e32 v99, v86, v84
	v_sub_f32_e32 v84, v84, v88
	;; [unrolled: 1-line block ×3, first 2 shown]
	v_add_f32_e32 v88, v88, v92
	v_sub_f32_e32 v79, v79, v100
	v_sub_f32_e32 v100, v87, v85
	;; [unrolled: 1-line block ×4, first 2 shown]
	v_dual_add_f32 v89, v89, v93 :: v_dual_add_f32 v66, v88, v66
	v_dual_add_f32 v103, v74, v78 :: v_dual_add_f32 v104, v75, v79
	v_dual_sub_f32 v105, v74, v78 :: v_dual_sub_f32 v106, v75, v79
	v_sub_f32_e32 v79, v79, v83
	s_delay_alu instid0(VALU_DEP_4)
	v_add_f32_e32 v67, v89, v67
	v_mov_b32_e32 v107, v66
	v_dual_sub_f32 v74, v82, v74 :: v_dual_sub_f32 v75, v83, v75
	v_sub_f32_e32 v78, v78, v82
	v_dual_add_f32 v82, v103, v82 :: v_dual_add_f32 v83, v104, v83
	v_dual_mul_f32 v84, 0x3f4a47b2, v84 :: v_dual_mul_f32 v85, 0x3f4a47b2, v85
	v_dual_mul_f32 v92, 0x3d64c772, v86 :: v_dual_mul_f32 v93, 0x3d64c772, v87
	;; [unrolled: 1-line block ×3, first 2 shown]
	v_mul_f32_e32 v106, 0xbf5ff5aa, v79
	v_dual_fmac_f32 v107, 0xbf955555, v88 :: v_dual_mov_b32 v88, v67
	v_mul_f32_e32 v105, 0xbf5ff5aa, v78
	v_dual_fmamk_f32 v86, v86, 0x3d64c772, v84 :: v_dual_fmamk_f32 v87, v87, 0x3d64c772, v85
	v_fma_f32 v84, 0xbf3bfb3b, v99, -v84
	s_delay_alu instid0(VALU_DEP_4)
	v_fmac_f32_e32 v88, 0xbf955555, v89
	v_fma_f32 v89, 0x3f3bfb3b, v99, -v92
	v_fma_f32 v92, 0x3f3bfb3b, v100, -v93
	;; [unrolled: 1-line block ×3, first 2 shown]
	v_fmamk_f32 v93, v74, 0x3eae86e6, v103
	v_fma_f32 v100, 0x3f5ff5aa, v78, -v103
	v_fma_f32 v103, 0x3f5ff5aa, v79, -v104
	v_fmac_f32_e32 v106, 0xbeae86e6, v75
	v_fmamk_f32 v99, v75, 0x3eae86e6, v104
	v_dual_fmac_f32 v105, 0xbeae86e6, v74 :: v_dual_add_f32 v74, v89, v107
	v_add_f32_e32 v75, v92, v88
	v_add_f32_e32 v92, v84, v107
	v_fmac_f32_e32 v103, 0x3ee1c552, v83
	v_fmac_f32_e32 v106, 0x3ee1c552, v83
	v_add_f32_e32 v104, v86, v107
	v_add_f32_e32 v108, v87, v88
	;; [unrolled: 1-line block ×3, first 2 shown]
	v_fmac_f32_e32 v93, 0x3ee1c552, v82
	v_dual_fmac_f32 v99, 0x3ee1c552, v83 :: v_dual_add_f32 v88, v106, v92
	v_sub_f32_e32 v78, v74, v103
	v_add_f32_e32 v84, v103, v74
	v_sub_f32_e32 v74, v92, v106
	s_waitcnt lgkmcnt(9)
	v_add_f32_e32 v92, v90, v68
	v_sub_f32_e32 v68, v90, v68
	v_add_f32_e32 v90, v60, v101
	v_fmac_f32_e32 v100, 0x3ee1c552, v82
	v_dual_fmac_f32 v105, 0x3ee1c552, v82 :: v_dual_add_f32 v86, v104, v99
	v_sub_f32_e32 v87, v108, v93
	v_dual_sub_f32 v82, v104, v99 :: v_dual_add_f32 v83, v93, v108
	v_add_f32_e32 v93, v91, v69
	v_sub_f32_e32 v69, v91, v69
	v_add_f32_e32 v91, v61, v102
	v_dual_add_f32 v99, v94, v56 :: v_dual_sub_f32 v56, v56, v94
	v_dual_add_f32 v94, v90, v92 :: v_dual_add_f32 v79, v100, v75
	v_sub_f32_e32 v85, v75, v100
	v_dual_add_f32 v100, v95, v57 :: v_dual_sub_f32 v57, v57, v95
	v_add_f32_e32 v95, v91, v93
	s_delay_alu instid0(VALU_DEP_4) | instskip(SKIP_2) | instid1(VALU_DEP_3)
	v_add_f32_e32 v94, v99, v94
	v_dual_sub_f32 v60, v60, v101 :: v_dual_sub_f32 v61, v61, v102
	v_sub_f32_e32 v89, v107, v105
	v_dual_add_f32 v95, v100, v95 :: v_dual_add_f32 v52, v94, v52
	v_add_f32_e32 v75, v105, v107
	v_dual_sub_f32 v101, v90, v92 :: v_dual_sub_f32 v102, v91, v93
	v_dual_sub_f32 v92, v92, v99 :: v_dual_sub_f32 v93, v93, v100
	;; [unrolled: 1-line block ×3, first 2 shown]
	v_dual_add_f32 v103, v56, v60 :: v_dual_add_f32 v104, v57, v61
	v_dual_sub_f32 v105, v56, v60 :: v_dual_sub_f32 v106, v57, v61
	v_sub_f32_e32 v61, v61, v69
	v_add_f32_e32 v53, v95, v53
	v_mov_b32_e32 v107, v52
	v_dual_sub_f32 v56, v68, v56 :: v_dual_sub_f32 v57, v69, v57
	v_sub_f32_e32 v60, v60, v68
	v_dual_add_f32 v68, v103, v68 :: v_dual_add_f32 v69, v104, v69
	v_dual_mul_f32 v92, 0x3f4a47b2, v92 :: v_dual_mul_f32 v93, 0x3f4a47b2, v93
	v_dual_mul_f32 v99, 0x3d64c772, v90 :: v_dual_mul_f32 v100, 0x3d64c772, v91
	;; [unrolled: 1-line block ×3, first 2 shown]
	v_mul_f32_e32 v106, 0xbf5ff5aa, v61
	v_dual_fmac_f32 v107, 0xbf955555, v94 :: v_dual_mov_b32 v94, v53
	v_mul_f32_e32 v105, 0xbf5ff5aa, v60
	v_dual_fmamk_f32 v90, v90, 0x3d64c772, v92 :: v_dual_fmamk_f32 v91, v91, 0x3d64c772, v93
	v_fma_f32 v92, 0xbf3bfb3b, v101, -v92
	s_delay_alu instid0(VALU_DEP_4)
	v_fmac_f32_e32 v94, 0xbf955555, v95
	v_fma_f32 v95, 0x3f3bfb3b, v101, -v99
	v_fma_f32 v99, 0x3f3bfb3b, v102, -v100
	;; [unrolled: 1-line block ×3, first 2 shown]
	v_fmamk_f32 v100, v56, 0x3eae86e6, v103
	v_fma_f32 v102, 0x3f5ff5aa, v60, -v103
	v_fma_f32 v103, 0x3f5ff5aa, v61, -v104
	v_fmac_f32_e32 v106, 0xbeae86e6, v57
	v_fmamk_f32 v101, v57, 0x3eae86e6, v104
	v_dual_fmac_f32 v105, 0xbeae86e6, v56 :: v_dual_add_f32 v56, v95, v107
	v_add_f32_e32 v57, v99, v94
	v_add_f32_e32 v99, v92, v107
	v_fmac_f32_e32 v103, 0x3ee1c552, v69
	v_fmac_f32_e32 v106, 0x3ee1c552, v69
	v_add_f32_e32 v104, v90, v107
	v_add_f32_e32 v108, v91, v94
	v_dual_add_f32 v107, v93, v94 :: v_dual_fmac_f32 v100, 0x3ee1c552, v68
	s_delay_alu instid0(VALU_DEP_4)
	v_add_f32_e32 v94, v106, v99
	v_sub_f32_e32 v60, v56, v103
	v_add_f32_e32 v90, v103, v56
	v_sub_f32_e32 v56, v99, v106
	s_waitcnt lgkmcnt(8)
	v_add_f32_e32 v99, v48, v70
	v_sub_f32_e32 v48, v48, v70
	s_waitcnt lgkmcnt(6)
	v_dual_add_f32 v70, v62, v44 :: v_dual_fmac_f32 v101, 0x3ee1c552, v69
	v_sub_f32_e32 v93, v108, v100
	v_dual_add_f32 v69, v100, v108 :: v_dual_add_f32 v100, v49, v71
	v_sub_f32_e32 v49, v49, v71
	v_dual_add_f32 v71, v63, v45 :: v_dual_sub_f32 v44, v62, v44
	v_add_f32_e32 v62, v40, v58
	v_sub_f32_e32 v40, v58, v40
	v_add_f32_e32 v58, v70, v99
	v_fmac_f32_e32 v102, 0x3ee1c552, v68
	v_fmac_f32_e32 v105, 0x3ee1c552, v68
	v_sub_f32_e32 v45, v63, v45
	v_add_f32_e32 v63, v41, v59
	v_sub_f32_e32 v41, v59, v41
	v_dual_add_f32 v59, v71, v100 :: v_dual_add_f32 v58, v62, v58
	v_add_f32_e32 v92, v104, v101
	v_sub_f32_e32 v95, v107, v105
	v_add_f32_e32 v61, v102, v57
	v_sub_f32_e32 v91, v57, v102
	v_dual_add_f32 v57, v105, v107 :: v_dual_sub_f32 v68, v104, v101
	v_sub_f32_e32 v101, v70, v99
	v_sub_f32_e32 v99, v99, v62
	v_add_f32_e32 v103, v40, v44
	v_sub_f32_e32 v105, v40, v44
	v_sub_f32_e32 v107, v48, v40
	v_dual_add_f32 v59, v63, v59 :: v_dual_add_f32 v40, v58, v54
	v_sub_f32_e32 v102, v71, v100
	v_sub_f32_e32 v100, v100, v63
	v_dual_sub_f32 v70, v62, v70 :: v_dual_sub_f32 v71, v63, v71
	v_add_f32_e32 v104, v41, v45
	v_sub_f32_e32 v106, v41, v45
	v_sub_f32_e32 v108, v49, v41
	;; [unrolled: 1-line block ×3, first 2 shown]
	v_add_f32_e32 v41, v59, v55
	v_mul_f32_e32 v54, 0x3f4a47b2, v99
	v_mul_f32_e32 v99, 0xbf08b237, v105
	v_mov_b32_e32 v105, v40
	v_sub_f32_e32 v44, v44, v48
	v_add_f32_e32 v49, v104, v49
	v_mul_f32_e32 v55, 0x3f4a47b2, v100
	v_dual_mul_f32 v62, 0x3d64c772, v70 :: v_dual_mul_f32 v63, 0x3d64c772, v71
	v_mul_f32_e32 v100, 0xbf08b237, v106
	v_mul_f32_e32 v104, 0xbf5ff5aa, v45
	v_dual_fmac_f32 v105, 0xbf955555, v58 :: v_dual_mov_b32 v58, v41
	v_add_f32_e32 v48, v103, v48
	v_mul_f32_e32 v103, 0xbf5ff5aa, v44
	v_fma_f32 v62, 0x3f3bfb3b, v101, -v62
	v_fma_f32 v63, 0x3f3bfb3b, v102, -v63
	v_fmac_f32_e32 v58, 0xbf955555, v59
	v_dual_fmamk_f32 v59, v70, 0x3d64c772, v54 :: v_dual_fmamk_f32 v70, v71, 0x3d64c772, v55
	v_fma_f32 v54, 0xbf3bfb3b, v101, -v54
	v_fma_f32 v55, 0xbf3bfb3b, v102, -v55
	v_fmamk_f32 v102, v108, 0x3eae86e6, v100
	v_fma_f32 v44, 0x3f5ff5aa, v44, -v99
	v_fma_f32 v45, 0x3f5ff5aa, v45, -v100
	v_fmac_f32_e32 v104, 0xbeae86e6, v108
	v_fmamk_f32 v101, v107, 0x3eae86e6, v99
	v_fmac_f32_e32 v103, 0xbeae86e6, v107
	v_add_f32_e32 v99, v59, v105
	v_dual_add_f32 v59, v62, v105 :: v_dual_add_f32 v106, v63, v58
	v_add_f32_e32 v54, v54, v105
	v_fmac_f32_e32 v102, 0x3ee1c552, v49
	v_dual_fmac_f32 v44, 0x3ee1c552, v48 :: v_dual_fmac_f32 v45, 0x3ee1c552, v49
	v_fmac_f32_e32 v104, 0x3ee1c552, v49
	v_add_f32_e32 v100, v70, v58
	v_add_f32_e32 v55, v55, v58
	v_fmac_f32_e32 v101, 0x3ee1c552, v48
	v_dual_fmac_f32 v103, 0x3ee1c552, v48 :: v_dual_add_f32 v62, v99, v102
	v_add_f32_e32 v70, v104, v54
	v_dual_sub_f32 v48, v59, v45 :: v_dual_add_f32 v49, v44, v106
	v_dual_add_f32 v58, v45, v59 :: v_dual_sub_f32 v59, v106, v44
	v_sub_f32_e32 v44, v54, v104
	s_waitcnt lgkmcnt(2)
	v_dual_sub_f32 v54, v99, v102 :: v_dual_add_f32 v99, v50, v36
	v_sub_f32_e32 v36, v50, v36
	v_add_f32_e32 v50, v32, v46
	v_sub_f32_e32 v63, v100, v101
	v_sub_f32_e32 v71, v55, v103
	v_add_f32_e32 v45, v103, v55
	v_dual_add_f32 v55, v101, v100 :: v_dual_add_f32 v100, v51, v37
	v_sub_f32_e32 v37, v51, v37
	v_dual_add_f32 v51, v33, v47 :: v_dual_sub_f32 v32, v32, v46
	v_add_f32_e32 v46, v42, v28
	v_sub_f32_e32 v28, v28, v42
	v_add_f32_e32 v42, v50, v99
	v_sub_f32_e32 v33, v33, v47
	;; [unrolled: 2-line block ×3, first 2 shown]
	s_delay_alu instid0(VALU_DEP_4) | instskip(SKIP_2) | instid1(VALU_DEP_3)
	v_dual_add_f32 v43, v51, v100 :: v_dual_add_f32 v42, v46, v42
	v_dual_sub_f32 v101, v50, v99 :: v_dual_sub_f32 v102, v51, v100
	v_sub_f32_e32 v99, v99, v46
	v_dual_add_f32 v43, v47, v43 :: v_dual_add_f32 v24, v42, v24
	v_sub_f32_e32 v100, v100, v47
	v_dual_sub_f32 v50, v46, v50 :: v_dual_sub_f32 v51, v47, v51
	v_dual_add_f32 v103, v28, v32 :: v_dual_add_f32 v104, v29, v33
	v_dual_sub_f32 v105, v28, v32 :: v_dual_sub_f32 v106, v29, v33
	v_sub_f32_e32 v33, v33, v37
	v_add_f32_e32 v25, v43, v25
	v_mov_b32_e32 v107, v24
	ds_load_2addr_b64 v[16:19], v204 offset0:168 offset1:217
	ds_load_b64 v[96:97], v110 offset:18816
	v_dual_sub_f32 v28, v36, v28 :: v_dual_sub_f32 v29, v37, v29
	v_sub_f32_e32 v32, v32, v36
	v_dual_add_f32 v36, v103, v36 :: v_dual_add_f32 v37, v104, v37
	v_dual_mul_f32 v46, 0x3f4a47b2, v99 :: v_dual_mul_f32 v47, 0x3f4a47b2, v100
	v_dual_mul_f32 v99, 0x3d64c772, v50 :: v_dual_mul_f32 v100, 0x3d64c772, v51
	;; [unrolled: 1-line block ×3, first 2 shown]
	v_mul_f32_e32 v106, 0xbf5ff5aa, v33
	v_dual_fmac_f32 v107, 0xbf955555, v42 :: v_dual_mov_b32 v42, v25
	v_mul_f32_e32 v105, 0xbf5ff5aa, v32
	s_waitcnt lgkmcnt(0)
	s_delay_alu instid0(VALU_DEP_3)
	v_fmac_f32_e32 v106, 0xbeae86e6, v29
	s_barrier
	v_fmac_f32_e32 v42, 0xbf955555, v43
	v_dual_fmamk_f32 v43, v50, 0x3d64c772, v46 :: v_dual_fmamk_f32 v50, v51, 0x3d64c772, v47
	v_fma_f32 v51, 0x3f3bfb3b, v101, -v99
	v_fma_f32 v99, 0x3f3bfb3b, v102, -v100
	;; [unrolled: 1-line block ×4, first 2 shown]
	v_fmamk_f32 v100, v28, 0x3eae86e6, v103
	v_fma_f32 v102, 0x3f5ff5aa, v32, -v103
	v_fma_f32 v103, 0x3f5ff5aa, v33, -v104
	v_fmamk_f32 v101, v29, 0x3eae86e6, v104
	v_dual_fmac_f32 v105, 0xbeae86e6, v28 :: v_dual_add_f32 v28, v51, v107
	v_add_f32_e32 v29, v99, v42
	v_add_f32_e32 v99, v46, v107
	v_fmac_f32_e32 v103, 0x3ee1c552, v37
	v_fmac_f32_e32 v106, 0x3ee1c552, v37
	v_add_f32_e32 v104, v43, v107
	v_add_f32_e32 v108, v50, v42
	v_dual_add_f32 v107, v47, v42 :: v_dual_fmac_f32 v100, 0x3ee1c552, v36
	s_delay_alu instid0(VALU_DEP_4)
	v_add_f32_e32 v50, v106, v99
	v_sub_f32_e32 v32, v28, v103
	v_add_f32_e32 v42, v103, v28
	v_sub_f32_e32 v28, v99, v106
	v_add_f32_e32 v99, v20, v38
	v_sub_f32_e32 v20, v20, v38
	v_dual_add_f32 v38, v34, v16 :: v_dual_fmac_f32 v101, 0x3ee1c552, v37
	v_sub_f32_e32 v47, v108, v100
	v_dual_add_f32 v37, v100, v108 :: v_dual_add_f32 v100, v21, v39
	v_sub_f32_e32 v21, v21, v39
	v_dual_add_f32 v39, v35, v17 :: v_dual_sub_f32 v16, v34, v16
	v_add_f32_e32 v34, v12, v30
	v_sub_f32_e32 v12, v30, v12
	v_add_f32_e32 v30, v38, v99
	v_fmac_f32_e32 v102, 0x3ee1c552, v36
	v_fmac_f32_e32 v105, 0x3ee1c552, v36
	v_sub_f32_e32 v17, v35, v17
	v_add_f32_e32 v35, v13, v31
	v_sub_f32_e32 v13, v31, v13
	v_dual_add_f32 v31, v39, v100 :: v_dual_add_f32 v30, v34, v30
	v_add_f32_e32 v46, v104, v101
	v_sub_f32_e32 v51, v107, v105
	v_add_f32_e32 v33, v102, v29
	v_sub_f32_e32 v43, v29, v102
	v_dual_add_f32 v29, v105, v107 :: v_dual_sub_f32 v36, v104, v101
	v_sub_f32_e32 v101, v38, v99
	v_sub_f32_e32 v99, v99, v34
	v_add_f32_e32 v103, v12, v16
	v_sub_f32_e32 v105, v12, v16
	v_sub_f32_e32 v107, v20, v12
	v_dual_add_f32 v31, v35, v31 :: v_dual_add_f32 v12, v30, v26
	v_sub_f32_e32 v102, v39, v100
	v_sub_f32_e32 v100, v100, v35
	v_dual_sub_f32 v38, v34, v38 :: v_dual_sub_f32 v39, v35, v39
	v_add_f32_e32 v104, v13, v17
	v_sub_f32_e32 v106, v13, v17
	v_sub_f32_e32 v108, v21, v13
	;; [unrolled: 1-line block ×3, first 2 shown]
	v_add_f32_e32 v13, v31, v27
	v_mul_f32_e32 v26, 0x3f4a47b2, v99
	v_mul_f32_e32 v99, 0xbf08b237, v105
	v_mov_b32_e32 v105, v12
	v_sub_f32_e32 v16, v16, v20
	v_add_f32_e32 v21, v104, v21
	v_mul_f32_e32 v27, 0x3f4a47b2, v100
	v_dual_mul_f32 v34, 0x3d64c772, v38 :: v_dual_mul_f32 v35, 0x3d64c772, v39
	v_mul_f32_e32 v100, 0xbf08b237, v106
	v_mul_f32_e32 v104, 0xbf5ff5aa, v17
	v_dual_fmac_f32 v105, 0xbf955555, v30 :: v_dual_mov_b32 v30, v13
	v_add_f32_e32 v20, v103, v20
	v_mul_f32_e32 v103, 0xbf5ff5aa, v16
	v_fma_f32 v34, 0x3f3bfb3b, v101, -v34
	v_fma_f32 v35, 0x3f3bfb3b, v102, -v35
	v_fmac_f32_e32 v30, 0xbf955555, v31
	v_dual_fmamk_f32 v31, v38, 0x3d64c772, v26 :: v_dual_fmamk_f32 v38, v39, 0x3d64c772, v27
	v_fma_f32 v26, 0xbf3bfb3b, v101, -v26
	v_fma_f32 v27, 0xbf3bfb3b, v102, -v27
	v_fmamk_f32 v102, v108, 0x3eae86e6, v100
	v_fma_f32 v16, 0x3f5ff5aa, v16, -v99
	v_fma_f32 v17, 0x3f5ff5aa, v17, -v100
	v_fmac_f32_e32 v104, 0xbeae86e6, v108
	v_fmamk_f32 v101, v107, 0x3eae86e6, v99
	v_fmac_f32_e32 v103, 0xbeae86e6, v107
	v_add_f32_e32 v99, v31, v105
	v_dual_add_f32 v31, v34, v105 :: v_dual_add_f32 v106, v35, v30
	v_add_f32_e32 v26, v26, v105
	v_fmac_f32_e32 v102, 0x3ee1c552, v21
	v_dual_fmac_f32 v16, 0x3ee1c552, v20 :: v_dual_fmac_f32 v17, 0x3ee1c552, v21
	v_fmac_f32_e32 v104, 0x3ee1c552, v21
	v_add_f32_e32 v100, v38, v30
	v_add_f32_e32 v27, v27, v30
	v_fmac_f32_e32 v101, 0x3ee1c552, v20
	v_dual_fmac_f32 v103, 0x3ee1c552, v20 :: v_dual_add_f32 v34, v99, v102
	v_add_f32_e32 v38, v104, v26
	v_dual_sub_f32 v20, v31, v17 :: v_dual_add_f32 v21, v16, v106
	v_dual_add_f32 v30, v17, v31 :: v_dual_sub_f32 v31, v106, v16
	v_sub_f32_e32 v16, v26, v104
	v_dual_sub_f32 v26, v99, v102 :: v_dual_add_f32 v99, v22, v96
	v_sub_f32_e32 v22, v22, v96
	v_add_f32_e32 v96, v4, v18
	v_sub_f32_e32 v35, v100, v101
	v_sub_f32_e32 v39, v27, v103
	v_add_f32_e32 v17, v103, v27
	v_dual_add_f32 v27, v101, v100 :: v_dual_add_f32 v100, v23, v97
	v_sub_f32_e32 v23, v23, v97
	v_dual_add_f32 v97, v5, v19 :: v_dual_sub_f32 v4, v4, v18
	v_add_f32_e32 v18, v14, v8
	v_sub_f32_e32 v8, v8, v14
	v_add_f32_e32 v14, v96, v99
	v_sub_f32_e32 v5, v5, v19
	;; [unrolled: 2-line block ×3, first 2 shown]
	s_delay_alu instid0(VALU_DEP_4) | instskip(SKIP_2) | instid1(VALU_DEP_3)
	v_dual_add_f32 v15, v97, v100 :: v_dual_add_f32 v14, v18, v14
	v_dual_sub_f32 v101, v96, v99 :: v_dual_sub_f32 v102, v97, v100
	v_sub_f32_e32 v99, v99, v18
	v_dual_add_f32 v15, v19, v15 :: v_dual_add_f32 v0, v14, v0
	v_sub_f32_e32 v100, v100, v19
	v_dual_sub_f32 v96, v18, v96 :: v_dual_sub_f32 v97, v19, v97
	v_dual_add_f32 v103, v8, v4 :: v_dual_add_f32 v104, v9, v5
	v_sub_f32_e32 v105, v8, v4
	v_add_f32_e32 v1, v15, v1
	v_dual_mov_b32 v107, v0 :: v_dual_sub_f32 v106, v9, v5
	v_dual_sub_f32 v8, v22, v8 :: v_dual_sub_f32 v9, v23, v9
	v_dual_sub_f32 v4, v4, v22 :: v_dual_sub_f32 v5, v5, v23
	v_dual_add_f32 v18, v103, v22 :: v_dual_add_f32 v19, v104, v23
	v_dual_mul_f32 v22, 0x3f4a47b2, v99 :: v_dual_mul_f32 v23, 0x3f4a47b2, v100
	v_dual_mul_f32 v99, 0x3d64c772, v96 :: v_dual_mul_f32 v100, 0x3d64c772, v97
	v_mul_f32_e32 v103, 0xbf08b237, v105
	v_dual_fmac_f32 v107, 0xbf955555, v14 :: v_dual_mov_b32 v14, v1
	v_mul_f32_e32 v104, 0xbf08b237, v106
	v_dual_mul_f32 v105, 0xbf5ff5aa, v4 :: v_dual_mul_f32 v106, 0xbf5ff5aa, v5
	s_delay_alu instid0(VALU_DEP_4) | instskip(NEXT) | instid1(VALU_DEP_4)
	v_fma_f32 v4, 0x3f5ff5aa, v4, -v103
	v_fmac_f32_e32 v14, 0xbf955555, v15
	v_dual_fmamk_f32 v15, v96, 0x3d64c772, v22 :: v_dual_fmamk_f32 v96, v97, 0x3d64c772, v23
	v_fma_f32 v97, 0x3f3bfb3b, v101, -v99
	v_fma_f32 v99, 0x3f3bfb3b, v102, -v100
	;; [unrolled: 1-line block ×3, first 2 shown]
	v_fmamk_f32 v101, v9, 0x3eae86e6, v104
	v_fma_f32 v5, 0x3f5ff5aa, v5, -v104
	s_delay_alu instid0(VALU_DEP_4) | instskip(NEXT) | instid1(VALU_DEP_3)
	v_dual_fmac_f32 v106, 0xbeae86e6, v9 :: v_dual_add_f32 v99, v99, v14
	v_dual_fmac_f32 v4, 0x3ee1c552, v18 :: v_dual_fmac_f32 v101, 0x3ee1c552, v19
	s_delay_alu instid0(VALU_DEP_3) | instskip(NEXT) | instid1(VALU_DEP_3)
	v_fmac_f32_e32 v5, 0x3ee1c552, v19
	v_fmac_f32_e32 v106, 0x3ee1c552, v19
	buffer_gl0_inv
	v_add_f32_e32 v9, v4, v99
	v_sub_f32_e32 v19, v99, v4
	v_mul_lo_u16 v99, v98, 7
	v_fma_f32 v23, 0xbf3bfb3b, v102, -v23
	v_fmamk_f32 v100, v8, 0x3eae86e6, v103
	v_dual_fmac_f32 v105, 0xbeae86e6, v8 :: v_dual_add_f32 v102, v96, v14
	s_delay_alu instid0(VALU_DEP_3) | instskip(NEXT) | instid1(VALU_DEP_3)
	v_dual_add_f32 v14, v23, v14 :: v_dual_and_b32 v99, 0xffff, v99
	v_fmac_f32_e32 v100, 0x3ee1c552, v18
	s_delay_alu instid0(VALU_DEP_3) | instskip(SKIP_1) | instid1(VALU_DEP_4)
	v_fmac_f32_e32 v105, 0x3ee1c552, v18
	v_add_f32_e32 v103, v97, v107
	v_lshlrev_b32_e32 v99, 3, v99
	ds_store_b64 v99, v[2:3]
	ds_store_2addr_b64 v99, v[76:77], v[80:81] offset0:1 offset1:2
	v_mul_u32_u24_e32 v2, 7, v121
	scratch_store_b32 off, v99, off offset:920 ; 4-byte Folded Spill
	ds_store_2addr_b64 v99, v[10:11], v[72:73] offset0:3 offset1:4
	ds_store_2addr_b64 v99, v[6:7], v[64:65] offset0:5 offset1:6
	v_sub_f32_e32 v23, v102, v100
	v_dual_sub_f32 v97, v14, v105 :: v_dual_lshlrev_b32 v2, 3, v2
	ds_store_b64 v2, v[66:67]
	ds_store_2addr_b64 v2, v[86:87], v[88:89] offset0:1 offset1:2
	v_and_b32_e32 v86, 0xff, v98
	scratch_store_b32 off, v2, off offset:924 ; 4-byte Folded Spill
	ds_store_2addr_b64 v2, v[78:79], v[84:85] offset0:3 offset1:4
	ds_store_2addr_b64 v2, v[74:75], v[82:83] offset0:5 offset1:6
	v_mul_u32_u24_e32 v2, 7, v112
	v_add_f32_e32 v15, v15, v107
	v_mul_lo_u16 v86, v86, 37
	v_add_f32_e32 v104, v22, v107
	v_sub_f32_e32 v8, v103, v5
	v_lshlrev_b32_e32 v2, 3, v2
	ds_store_b64 v2, v[52:53]
	ds_store_2addr_b64 v2, v[92:93], v[94:95] offset0:1 offset1:2
	v_lshrrev_b16 v86, 8, v86
	scratch_store_b32 off, v2, off offset:916 ; 4-byte Folded Spill
	ds_store_2addr_b64 v2, v[60:61], v[90:91] offset0:3 offset1:4
	ds_store_2addr_b64 v2, v[56:57], v[68:69] offset0:5 offset1:6
	v_mul_u32_u24_e32 v2, 7, v128
	v_add_f32_e32 v18, v5, v103
	v_sub_nc_u16 v87, v98, v86
	v_add_f32_e32 v22, v15, v101
	v_add_f32_e32 v96, v106, v104
	v_lshlrev_b32_e32 v2, 3, v2
	ds_store_b64 v2, v[40:41]
	ds_store_2addr_b64 v2, v[62:63], v[70:71] offset0:1 offset1:2
	v_lshrrev_b16 v87, 1, v87
	scratch_store_b32 off, v2, off offset:848 ; 4-byte Folded Spill
	ds_store_2addr_b64 v2, v[48:49], v[58:59] offset0:3 offset1:4
	ds_store_2addr_b64 v2, v[44:45], v[54:55] offset0:5 offset1:6
	v_mul_u32_u24_e32 v2, 7, v129
	v_dual_sub_f32 v4, v104, v106 :: v_dual_and_b32 v87, 0x7f, v87
	v_dual_add_f32 v5, v105, v14 :: v_dual_sub_f32 v14, v15, v101
	s_delay_alu instid0(VALU_DEP_3)
	v_lshlrev_b32_e32 v2, 3, v2
	ds_store_b64 v2, v[24:25]
	ds_store_2addr_b64 v2, v[46:47], v[50:51] offset0:1 offset1:2
	v_add_nc_u16 v86, v87, v86
	scratch_store_b32 off, v2, off offset:748 ; 4-byte Folded Spill
	ds_store_2addr_b64 v2, v[32:33], v[42:43] offset0:3 offset1:4
	ds_store_2addr_b64 v2, v[28:29], v[36:37] offset0:5 offset1:6
	v_mul_u32_u24_e32 v2, 7, v130
	v_add_f32_e32 v15, v100, v102
	v_lshrrev_b16 v126, 2, v86
	v_mov_b32_e32 v206, v114
	s_delay_alu instid0(VALU_DEP_4)
	v_lshlrev_b32_e32 v2, 3, v2
	ds_store_b64 v2, v[12:13]
	ds_store_2addr_b64 v2, v[34:35], v[38:39] offset0:1 offset1:2
	v_mul_lo_u16 v86, v126, 7
	scratch_store_b32 off, v2, off offset:652 ; 4-byte Folded Spill
	ds_store_2addr_b64 v2, v[20:21], v[30:31] offset0:3 offset1:4
	ds_store_2addr_b64 v2, v[16:17], v[26:27] offset0:5 offset1:6
	v_mul_u32_u24_e32 v2, 7, v213
	v_sub_nc_u16 v86, v98, v86
	s_delay_alu instid0(VALU_DEP_2)
	v_lshlrev_b32_e32 v2, 3, v2
	ds_store_b64 v2, v[0:1]
	ds_store_2addr_b64 v2, v[22:23], v[96:97] offset0:1 offset1:2
	v_and_b32_e32 v127, 0xff, v86
	scratch_store_b32 off, v2, off offset:600 ; 4-byte Folded Spill
	ds_store_2addr_b64 v2, v[8:9], v[18:19] offset0:3 offset1:4
	ds_store_2addr_b64 v2, v[4:5], v[14:15] offset0:5 offset1:6
	s_waitcnt lgkmcnt(0)
	s_waitcnt_vscnt null, 0x0
	s_barrier
	v_mul_u32_u24_e32 v86, 6, v127
	buffer_gl0_inv
	ds_load_2addr_b64 v[12:15], v110 offset1:49
	ds_load_2addr_b64 v[0:3], v188 offset0:38 offset1:87
	ds_load_2addr_b64 v[78:81], v189 offset0:174 offset1:223
	;; [unrolled: 1-line block ×14, first 2 shown]
	v_lshlrev_b32_e32 v86, 3, v86
	ds_load_2addr_b64 v[56:59], v200 offset0:152 offset1:201
	ds_load_2addr_b64 v[32:35], v204 offset0:70 offset1:119
	;; [unrolled: 1-line block ×9, first 2 shown]
	ds_load_b64 v[76:77], v110 offset:18816
	s_clause 0x2
	global_load_b128 v[103:106], v86, s[6:7] offset:32
	global_load_b128 v[113:116], v86, s[6:7] offset:16
	global_load_b128 v[117:120], v86, s[6:7]
	scratch_store_b32 off, v121, off offset:504 ; 4-byte Folded Spill
	s_waitcnt vmcnt(2) lgkmcnt(18)
	v_mul_f32_e32 v183, v99, v106
	s_waitcnt vmcnt(0)
	v_dual_mul_f32 v177, v82, v116 :: v_dual_mul_f32 v86, v3, v118
	v_mul_f32_e32 v181, v2, v118
	v_mul_f32_e32 v179, v78, v120
	s_clause 0x1
	scratch_store_b128 off, v[117:120], off offset:552
	scratch_store_b128 off, v[103:106], off offset:568
	v_fma_f32 v180, v2, v117, -v86
	v_mul_f32_e32 v2, v79, v120
	v_fmac_f32_e32 v181, v3, v117
	v_mul_f32_e32 v3, v26, v114
	scratch_store_b128 off, v[113:116], off offset:536 ; 16-byte Folded Spill
	v_fmac_f32_e32 v179, v79, v119
	v_fma_f32 v178, v78, v119, -v2
	v_mul_f32_e32 v2, v27, v114
	v_fmac_f32_e32 v3, v27, v113
	v_fmac_f32_e32 v177, v83, v115
	;; [unrolled: 1-line block ×3, first 2 shown]
	s_delay_alu instid0(VALU_DEP_4) | instskip(SKIP_1) | instid1(VALU_DEP_1)
	v_fma_f32 v2, v26, v113, -v2
	v_mul_f32_e32 v26, v83, v116
	v_fma_f32 v176, v82, v115, -v26
	v_mul_f32_e32 v26, v19, v104
	s_delay_alu instid0(VALU_DEP_1) | instskip(SKIP_2) | instid1(VALU_DEP_2)
	v_fma_f32 v182, v18, v103, -v26
	v_and_b32_e32 v26, 0xff, v121
	v_mul_f32_e32 v18, v18, v104
	v_mul_lo_u16 v26, v26, 37
	s_delay_alu instid0(VALU_DEP_2) | instskip(NEXT) | instid1(VALU_DEP_2)
	v_dual_fmac_f32 v18, v19, v103 :: v_dual_mul_f32 v19, v100, v106
	v_lshrrev_b16 v26, 8, v26
	s_delay_alu instid0(VALU_DEP_2) | instskip(NEXT) | instid1(VALU_DEP_2)
	v_fma_f32 v19, v99, v105, -v19
	v_sub_nc_u16 v27, v121, v26
	s_delay_alu instid0(VALU_DEP_1) | instskip(NEXT) | instid1(VALU_DEP_1)
	v_lshrrev_b16 v27, 1, v27
	v_and_b32_e32 v27, 0x7f, v27
	s_delay_alu instid0(VALU_DEP_1) | instskip(NEXT) | instid1(VALU_DEP_1)
	v_add_nc_u16 v26, v27, v26
	v_lshrrev_b16 v124, 2, v26
	s_delay_alu instid0(VALU_DEP_1) | instskip(NEXT) | instid1(VALU_DEP_1)
	v_mul_lo_u16 v26, v124, 7
	v_sub_nc_u16 v26, v121, v26
	s_delay_alu instid0(VALU_DEP_1) | instskip(NEXT) | instid1(VALU_DEP_1)
	v_and_b32_e32 v125, 0xff, v26
	v_mul_u32_u24_e32 v26, 6, v125
	s_delay_alu instid0(VALU_DEP_1)
	v_lshlrev_b32_e32 v26, 3, v26
	s_clause 0x2
	global_load_b128 v[103:106], v26, s[6:7] offset:32
	global_load_b128 v[113:116], v26, s[6:7] offset:16
	global_load_b128 v[117:120], v26, s[6:7]
	s_waitcnt vmcnt(2) lgkmcnt(15)
	v_mul_f32_e32 v173, v72, v104
	s_waitcnt vmcnt(1)
	v_mul_f32_e32 v78, v85, v116
	v_mul_f32_e32 v170, v84, v116
	s_waitcnt vmcnt(0)
	v_mul_f32_e32 v26, v95, v118
	v_dual_mul_f32 v168, v94, v118 :: v_dual_fmac_f32 v173, v73, v103
	v_fma_f32 v169, v84, v115, -v78
	v_mul_f32_e32 v78, v73, v104
	v_and_b32_e32 v84, 0xff, v112
	v_fma_f32 v167, v94, v117, -v26
	v_mul_f32_e32 v26, v81, v120
	v_mul_f32_e32 v166, v80, v120
	v_fma_f32 v171, v72, v103, -v78
	v_mul_f32_e32 v72, v102, v106
	scratch_store_b128 off, v[117:120], off offset:656 ; 16-byte Folded Spill
	v_fma_f32 v165, v80, v119, -v26
	v_mul_f32_e32 v26, v89, v114
	scratch_store_b128 off, v[113:116], off offset:676 ; 16-byte Folded Spill
	v_fma_f32 v174, v101, v105, -v72
	v_mul_lo_u16 v72, v84, 37
	scratch_store_b128 off, v[103:106], off offset:732 ; 16-byte Folded Spill
	v_fmac_f32_e32 v168, v95, v117
	v_fmac_f32_e32 v166, v81, v119
	v_fma_f32 v26, v88, v113, -v26
	v_lshrrev_b16 v72, 8, v72
	v_dual_mul_f32 v27, v88, v114 :: v_dual_fmac_f32 v170, v85, v115
	v_mul_f32_e32 v175, v101, v106
	s_delay_alu instid0(VALU_DEP_3) | instskip(NEXT) | instid1(VALU_DEP_3)
	v_sub_nc_u16 v73, v112, v72
	v_fmac_f32_e32 v27, v89, v113
	s_delay_alu instid0(VALU_DEP_3) | instskip(NEXT) | instid1(VALU_DEP_3)
	v_fmac_f32_e32 v175, v102, v105
	v_lshrrev_b16 v73, 1, v73
	s_delay_alu instid0(VALU_DEP_1) | instskip(NEXT) | instid1(VALU_DEP_1)
	v_and_b32_e32 v73, 0x7f, v73
	v_add_nc_u16 v72, v73, v72
	s_delay_alu instid0(VALU_DEP_1) | instskip(NEXT) | instid1(VALU_DEP_1)
	v_lshrrev_b16 v122, 2, v72
	v_mul_lo_u16 v72, v122, 7
	s_delay_alu instid0(VALU_DEP_1) | instskip(NEXT) | instid1(VALU_DEP_1)
	v_sub_nc_u16 v72, v112, v72
	v_and_b32_e32 v123, 0xff, v72
	s_delay_alu instid0(VALU_DEP_1) | instskip(NEXT) | instid1(VALU_DEP_1)
	v_mul_u32_u24_e32 v72, 6, v123
	v_lshlrev_b32_e32 v72, 3, v72
	s_clause 0x2
	global_load_b128 v[78:81], v72, s[6:7] offset:32
	global_load_b128 v[85:88], v72, s[6:7] offset:16
	global_load_b128 v[92:95], v72, s[6:7]
	s_waitcnt vmcnt(2) lgkmcnt(11)
	v_mul_f32_e32 v164, v60, v81
	s_waitcnt vmcnt(1)
	v_mul_f32_e32 v148, v90, v86
	s_waitcnt vmcnt(0)
	v_mul_f32_e32 v72, v97, v93
	v_mul_f32_e32 v138, v68, v95
	;; [unrolled: 1-line block ×3, first 2 shown]
	scratch_store_b128 off, v[85:88], off offset:832 ; 16-byte Folded Spill
	v_fmac_f32_e32 v148, v91, v85
	v_fma_f32 v149, v96, v92, -v72
	v_mul_f32_e32 v72, v69, v95
	v_fmac_f32_e32 v164, v61, v80
	s_clause 0x1
	scratch_store_b128 off, v[92:95], off offset:800
	scratch_store_b128 off, v[78:81], off offset:868
	v_fmac_f32_e32 v156, v65, v87
	v_fma_f32 v111, v68, v94, -v72
	v_mul_f32_e32 v68, v91, v86
	v_and_b32_e32 v86, 0xff, v129
	v_mul_f32_e32 v158, v74, v79
	v_mul_f32_e32 v150, v96, v93
	s_delay_alu instid0(VALU_DEP_4) | instskip(SKIP_1) | instid1(VALU_DEP_4)
	v_fma_f32 v139, v90, v85, -v68
	v_mul_f32_e32 v68, v65, v88
	v_dual_fmac_f32 v158, v75, v78 :: v_dual_and_b32 v85, 0xff, v128
	s_delay_alu instid0(VALU_DEP_4) | instskip(NEXT) | instid1(VALU_DEP_3)
	v_fmac_f32_e32 v150, v97, v92
	v_fma_f32 v151, v64, v87, -v68
	v_dual_mul_f32 v64, v75, v79 :: v_dual_and_b32 v87, 0xffff, v130
	s_delay_alu instid0(VALU_DEP_1) | instskip(SKIP_1) | instid1(VALU_DEP_1)
	v_fma_f32 v157, v74, v78, -v64
	v_mul_f32_e32 v64, v61, v81
	v_fma_f32 v159, v60, v80, -v64
	v_mul_lo_u16 v60, v85, 37
	s_delay_alu instid0(VALU_DEP_1) | instskip(NEXT) | instid1(VALU_DEP_1)
	v_lshrrev_b16 v60, 8, v60
	v_sub_nc_u16 v61, v128, v60
	s_delay_alu instid0(VALU_DEP_1) | instskip(NEXT) | instid1(VALU_DEP_1)
	v_lshrrev_b16 v61, 1, v61
	v_and_b32_e32 v61, 0x7f, v61
	s_delay_alu instid0(VALU_DEP_1) | instskip(NEXT) | instid1(VALU_DEP_1)
	v_add_nc_u16 v60, v61, v60
	v_lshrrev_b16 v114, 2, v60
	s_delay_alu instid0(VALU_DEP_1) | instskip(NEXT) | instid1(VALU_DEP_1)
	v_mul_lo_u16 v60, v114, 7
	v_sub_nc_u16 v60, v128, v60
	s_delay_alu instid0(VALU_DEP_1) | instskip(NEXT) | instid1(VALU_DEP_1)
	v_and_b32_e32 v115, 0xff, v60
	v_mul_u32_u24_e32 v60, 6, v115
	s_delay_alu instid0(VALU_DEP_1)
	v_lshlrev_b32_e32 v60, 3, v60
	s_clause 0x2
	global_load_b128 v[144:147], v60, s[6:7] offset:32
	global_load_b128 v[152:155], v60, s[6:7] offset:16
	global_load_b128 v[160:163], v60, s[6:7]
	s_waitcnt vmcnt(2) lgkmcnt(8)
	v_mul_f32_e32 v107, v32, v145
	s_waitcnt vmcnt(0)
	v_dual_mul_f32 v137, v62, v147 :: v_dual_mul_f32 v60, v37, v161
	v_mul_f32_e32 v73, v36, v161
	s_delay_alu instid0(VALU_DEP_3) | instskip(NEXT) | instid1(VALU_DEP_3)
	v_fmac_f32_e32 v107, v33, v144
	v_fmac_f32_e32 v137, v63, v146
	s_delay_alu instid0(VALU_DEP_4) | instskip(NEXT) | instid1(VALU_DEP_4)
	v_fma_f32 v72, v36, v160, -v60
	v_dual_mul_f32 v36, v71, v163 :: v_dual_fmac_f32 v73, v37, v160
	v_add_f32_e32 v37, v27, v170
	v_sub_f32_e32 v27, v170, v27
	s_delay_alu instid0(VALU_DEP_3) | instskip(SKIP_2) | instid1(VALU_DEP_2)
	v_fma_f32 v61, v70, v162, -v36
	v_mul_f32_e32 v36, v57, v153
	v_mul_f32_e32 v70, v70, v163
	v_fma_f32 v60, v56, v152, -v36
	v_mul_f32_e32 v56, v56, v153
	v_mul_f32_e32 v36, v67, v155
	s_delay_alu instid0(VALU_DEP_4) | instskip(SKIP_1) | instid1(VALU_DEP_4)
	v_dual_fmac_f32 v70, v71, v162 :: v_dual_mul_f32 v71, v66, v155
	v_fmac_f32_e32 v138, v69, v94
	v_fmac_f32_e32 v56, v57, v152
	s_delay_alu instid0(VALU_DEP_4) | instskip(NEXT) | instid1(VALU_DEP_4)
	v_fma_f32 v57, v66, v154, -v36
	v_dual_mul_f32 v36, v33, v145 :: v_dual_fmac_f32 v71, v67, v154
	s_delay_alu instid0(VALU_DEP_1) | instskip(SKIP_1) | instid1(VALU_DEP_1)
	v_fma_f32 v106, v32, v144, -v36
	v_mul_f32_e32 v32, v63, v147
	v_fma_f32 v136, v62, v146, -v32
	v_mul_lo_u16 v32, v86, 37
	s_delay_alu instid0(VALU_DEP_1) | instskip(NEXT) | instid1(VALU_DEP_1)
	v_lshrrev_b16 v32, 8, v32
	v_sub_nc_u16 v33, v129, v32
	s_delay_alu instid0(VALU_DEP_1) | instskip(NEXT) | instid1(VALU_DEP_1)
	v_lshrrev_b16 v33, 1, v33
	v_and_b32_e32 v33, 0x7f, v33
	s_delay_alu instid0(VALU_DEP_1) | instskip(NEXT) | instid1(VALU_DEP_1)
	v_add_nc_u16 v32, v33, v32
	v_lshrrev_b16 v95, 2, v32
	s_delay_alu instid0(VALU_DEP_1) | instskip(NEXT) | instid1(VALU_DEP_1)
	v_mul_lo_u16 v32, v95, 7
	v_sub_nc_u16 v32, v129, v32
	s_delay_alu instid0(VALU_DEP_1) | instskip(NEXT) | instid1(VALU_DEP_1)
	v_and_b32_e32 v113, 0xff, v32
	v_mul_u32_u24_e32 v32, 6, v113
	s_delay_alu instid0(VALU_DEP_1)
	v_lshlrev_b32_e32 v32, 3, v32
	s_clause 0x2
	global_load_b128 v[184:187], v32, s[6:7] offset:32
	global_load_b128 v[192:195], v32, s[6:7] offset:16
	global_load_b128 v[196:199], v32, s[6:7]
	s_waitcnt vmcnt(2) lgkmcnt(4)
	v_mul_f32_e32 v135, v44, v187
	v_mul_f32_e32 v105, v34, v185
	s_waitcnt vmcnt(0)
	v_mul_f32_e32 v32, v39, v197
	v_mul_f32_e32 v65, v38, v197
	;; [unrolled: 1-line block ×3, first 2 shown]
	v_fmac_f32_e32 v135, v45, v186
	v_fmac_f32_e32 v105, v35, v184
	v_fma_f32 v64, v38, v196, -v32
	v_dual_mul_f32 v32, v53, v199 :: v_dual_fmac_f32 v65, v39, v196
	v_dual_fmac_f32 v63, v53, v198 :: v_dual_and_b32 v212, 0xffff, v213
	v_mul_f32_e32 v67, v58, v193
	s_delay_alu instid0(VALU_DEP_3) | instskip(SKIP_1) | instid1(VALU_DEP_3)
	v_fma_f32 v62, v52, v198, -v32
	v_dual_mul_f32 v32, v59, v193 :: v_dual_mul_f32 v69, v48, v195
	v_fmac_f32_e32 v67, v59, v192
	s_delay_alu instid0(VALU_DEP_2) | instskip(SKIP_1) | instid1(VALU_DEP_4)
	v_fma_f32 v66, v58, v192, -v32
	v_mul_f32_e32 v32, v49, v195
	v_fmac_f32_e32 v69, v49, v194
	v_sub_f32_e32 v49, v156, v148
	s_delay_alu instid0(VALU_DEP_3) | instskip(SKIP_2) | instid1(VALU_DEP_2)
	v_fma_f32 v68, v48, v194, -v32
	v_mul_f32_e32 v32, v35, v185
	v_sub_f32_e32 v48, v151, v139
	v_fma_f32 v104, v34, v184, -v32
	v_mul_f32_e32 v32, v45, v187
	s_delay_alu instid0(VALU_DEP_1) | instskip(SKIP_1) | instid1(VALU_DEP_1)
	v_fma_f32 v134, v44, v186, -v32
	v_mul_u32_u24_e32 v32, 0x2493, v87
	v_lshrrev_b32_e32 v32, 16, v32
	s_delay_alu instid0(VALU_DEP_1) | instskip(NEXT) | instid1(VALU_DEP_1)
	v_sub_nc_u16 v33, v130, v32
	v_lshrrev_b16 v33, 1, v33
	s_delay_alu instid0(VALU_DEP_1) | instskip(NEXT) | instid1(VALU_DEP_1)
	v_add_nc_u16 v32, v33, v32
	v_lshrrev_b16 v120, 2, v32
	s_delay_alu instid0(VALU_DEP_1) | instskip(NEXT) | instid1(VALU_DEP_1)
	v_mul_lo_u16 v32, v120, 7
	v_sub_nc_u16 v121, v130, v32
	s_delay_alu instid0(VALU_DEP_1) | instskip(NEXT) | instid1(VALU_DEP_1)
	v_mul_lo_u16 v32, v121, 6
	v_and_b32_e32 v32, 0xffff, v32
	s_delay_alu instid0(VALU_DEP_1)
	v_lshlrev_b32_e32 v32, 3, v32
	s_clause 0x2
	global_load_b128 v[216:219], v32, s[6:7] offset:32
	global_load_b128 v[220:223], v32, s[6:7] offset:16
	global_load_b128 v[228:231], v32, s[6:7]
	s_waitcnt vmcnt(2) lgkmcnt(1)
	v_mul_f32_e32 v91, v20, v217
	s_waitcnt vmcnt(0)
	v_dual_mul_f32 v133, v46, v219 :: v_dual_mul_f32 v32, v29, v229
	v_mul_f32_e32 v75, v28, v229
	v_mul_f32_e32 v81, v54, v231
	v_fmac_f32_e32 v91, v21, v216
	v_mul_f32_e32 v79, v40, v221
	v_fma_f32 v74, v28, v228, -v32
	v_dual_mul_f32 v28, v55, v231 :: v_dual_fmac_f32 v75, v29, v228
	v_fmac_f32_e32 v81, v55, v230
	v_mul_f32_e32 v89, v50, v223
	v_fmac_f32_e32 v133, v47, v218
	s_delay_alu instid0(VALU_DEP_4) | instskip(SKIP_3) | instid1(VALU_DEP_3)
	v_fma_f32 v80, v54, v230, -v28
	v_mul_f32_e32 v28, v41, v221
	v_fmac_f32_e32 v79, v41, v220
	v_fmac_f32_e32 v89, v51, v222
	v_fma_f32 v78, v40, v220, -v28
	v_mul_f32_e32 v28, v51, v223
	s_delay_alu instid0(VALU_DEP_1) | instskip(SKIP_1) | instid1(VALU_DEP_1)
	v_fma_f32 v88, v50, v222, -v28
	v_mul_f32_e32 v28, v21, v217
	v_fma_f32 v90, v20, v216, -v28
	v_mul_f32_e32 v20, v47, v219
	s_delay_alu instid0(VALU_DEP_1) | instskip(SKIP_1) | instid1(VALU_DEP_1)
	v_fma_f32 v132, v46, v218, -v20
	v_mul_u32_u24_e32 v20, 0x2493, v212
	v_lshrrev_b32_e32 v20, 16, v20
	s_delay_alu instid0(VALU_DEP_1) | instskip(NEXT) | instid1(VALU_DEP_1)
	v_sub_nc_u16 v21, v213, v20
	v_lshrrev_b16 v21, 1, v21
	s_delay_alu instid0(VALU_DEP_1) | instskip(SKIP_1) | instid1(VALU_DEP_2)
	v_add_nc_u16 v20, v21, v20
	v_add_f32_e32 v21, v178, v182
	v_lshrrev_b16 v93, 2, v20
	s_delay_alu instid0(VALU_DEP_1) | instskip(NEXT) | instid1(VALU_DEP_1)
	v_mul_lo_u16 v20, v93, 7
	v_sub_nc_u16 v94, v213, v20
	s_delay_alu instid0(VALU_DEP_1) | instskip(NEXT) | instid1(VALU_DEP_1)
	v_mul_lo_u16 v20, v94, 6
	v_and_b32_e32 v20, 0xffff, v20
	s_delay_alu instid0(VALU_DEP_1)
	v_lshlrev_b32_e32 v20, 3, v20
	s_clause 0x2
	global_load_b128 v[140:143], v20, s[6:7] offset:32
	global_load_b128 v[232:235], v20, s[6:7] offset:16
	global_load_b128 v[236:239], v20, s[6:7]
	s_waitcnt vmcnt(0) lgkmcnt(0)
	s_waitcnt_vscnt null, 0x0
	s_barrier
	buffer_gl0_inv
	v_mul_f32_e32 v103, v22, v141
	v_dual_mul_f32 v101, v16, v235 :: v_dual_mul_f32 v20, v31, v237
	v_mul_f32_e32 v97, v24, v239
	v_mul_f32_e32 v83, v30, v237
	s_delay_alu instid0(VALU_DEP_4) | instskip(NEXT) | instid1(VALU_DEP_4)
	v_fmac_f32_e32 v103, v23, v140
	v_fmac_f32_e32 v101, v17, v234
	v_fma_f32 v82, v30, v236, -v20
	v_mul_f32_e32 v20, v25, v239
	v_fmac_f32_e32 v97, v25, v238
	v_add_f32_e32 v25, v3, v177
	v_fmac_f32_e32 v83, v31, v236
	v_sub_f32_e32 v3, v177, v3
	v_fma_f32 v96, v24, v238, -v20
	v_mul_f32_e32 v20, v43, v233
	v_add_f32_e32 v24, v2, v176
	v_dual_sub_f32 v2, v176, v2 :: v_dual_mul_f32 v99, v42, v233
	s_delay_alu instid0(VALU_DEP_3) | instskip(SKIP_2) | instid1(VALU_DEP_4)
	v_fma_f32 v98, v42, v232, -v20
	v_mul_f32_e32 v20, v17, v235
	v_add_f32_e32 v17, v181, v183
	v_fmac_f32_e32 v99, v43, v232
	s_delay_alu instid0(VALU_DEP_3) | instskip(SKIP_2) | instid1(VALU_DEP_2)
	v_fma_f32 v100, v16, v234, -v20
	v_dual_mul_f32 v16, v23, v141 :: v_dual_sub_f32 v23, v178, v182
	v_sub_f32_e32 v20, v181, v183
	v_fma_f32 v102, v22, v140, -v16
	v_mul_f32_e32 v16, v77, v143
	v_add_f32_e32 v22, v179, v18
	v_sub_f32_e32 v18, v179, v18
	v_sub_f32_e32 v34, v2, v23
	s_delay_alu instid0(VALU_DEP_4) | instskip(SKIP_4) | instid1(VALU_DEP_4)
	v_fma_f32 v108, v76, v142, -v16
	v_add_f32_e32 v16, v180, v19
	v_sub_f32_e32 v19, v180, v19
	v_add_f32_e32 v29, v22, v17
	v_dual_sub_f32 v31, v22, v17 :: v_dual_sub_f32 v32, v25, v22
	v_add_f32_e32 v28, v21, v16
	v_sub_f32_e32 v30, v21, v16
	v_sub_f32_e32 v16, v16, v24
	v_dual_sub_f32 v21, v24, v21 :: v_dual_add_f32 v22, v2, v23
	s_delay_alu instid0(VALU_DEP_4) | instskip(SKIP_3) | instid1(VALU_DEP_4)
	v_dual_add_f32 v24, v24, v28 :: v_dual_sub_f32 v17, v17, v25
	v_sub_f32_e32 v35, v3, v18
	v_sub_f32_e32 v2, v19, v2
	v_dual_sub_f32 v36, v23, v19 :: v_dual_add_f32 v25, v25, v29
	v_dual_add_f32 v19, v22, v19 :: v_dual_add_f32 v22, v24, v12
	v_dual_add_f32 v33, v3, v18 :: v_dual_sub_f32 v18, v18, v20
	s_delay_alu instid0(VALU_DEP_3) | instskip(SKIP_1) | instid1(VALU_DEP_4)
	v_add_f32_e32 v23, v25, v13
	v_mul_f32_e32 v29, 0xbf08b237, v35
	v_mov_b32_e32 v35, v22
	v_dual_sub_f32 v3, v20, v3 :: v_dual_mul_f32 v12, 0x3f4a47b2, v16
	v_mul_f32_e32 v13, 0x3f4a47b2, v17
	v_dual_mul_f32 v16, 0x3d64c772, v21 :: v_dual_mul_f32 v17, 0x3d64c772, v32
	v_mul_f32_e32 v28, 0xbf08b237, v34
	v_mul_f32_e32 v34, 0xbf5ff5aa, v18
	v_dual_fmac_f32 v35, 0xbf955555, v24 :: v_dual_mov_b32 v24, v23
	v_add_f32_e32 v20, v33, v20
	v_mul_f32_e32 v33, 0xbf5ff5aa, v36
	v_fmamk_f32 v21, v21, 0x3d64c772, v12
	v_fma_f32 v16, 0x3f3bfb3b, v30, -v16
	v_fmac_f32_e32 v24, 0xbf955555, v25
	v_fmamk_f32 v25, v32, 0x3d64c772, v13
	v_fma_f32 v17, 0x3f3bfb3b, v31, -v17
	v_fma_f32 v12, 0xbf3bfb3b, v30, -v12
	;; [unrolled: 1-line block ×3, first 2 shown]
	v_dual_fmamk_f32 v30, v2, 0x3eae86e6, v28 :: v_dual_fmamk_f32 v31, v3, 0x3eae86e6, v29
	v_fma_f32 v28, 0x3f5ff5aa, v36, -v28
	v_fma_f32 v29, 0x3f5ff5aa, v18, -v29
	v_dual_fmac_f32 v34, 0xbeae86e6, v3 :: v_dual_fmac_f32 v33, 0xbeae86e6, v2
	v_dual_add_f32 v16, v16, v35 :: v_dual_add_f32 v17, v17, v24
	v_add_f32_e32 v32, v12, v35
	s_delay_alu instid0(VALU_DEP_4) | instskip(NEXT) | instid1(VALU_DEP_4)
	v_dual_fmac_f32 v28, 0x3ee1c552, v19 :: v_dual_fmac_f32 v29, 0x3ee1c552, v20
	v_fmac_f32_e32 v34, 0x3ee1c552, v20
	v_add_f32_e32 v2, v21, v35
	v_add_f32_e32 v35, v13, v24
	v_fmac_f32_e32 v31, 0x3ee1c552, v20
	s_delay_alu instid0(VALU_DEP_4)
	v_dual_fmac_f32 v33, 0x3ee1c552, v19 :: v_dual_add_f32 v18, v34, v32
	v_sub_f32_e32 v20, v16, v29
	v_dual_add_f32 v21, v28, v17 :: v_dual_add_f32 v12, v29, v16
	v_dual_sub_f32 v13, v17, v28 :: v_dual_sub_f32 v16, v32, v34
	v_add_f32_e32 v28, v167, v174
	v_add_f32_e32 v32, v165, v171
	v_dual_add_f32 v3, v25, v24 :: v_dual_fmac_f32 v30, 0x3ee1c552, v19
	v_sub_f32_e32 v19, v35, v33
	v_add_f32_e32 v17, v33, v35
	v_add_f32_e32 v29, v168, v175
	v_add_f32_e32 v33, v166, v173
	v_add_f32_e32 v36, v26, v169
	v_dual_add_f32 v38, v32, v28 :: v_dual_sub_f32 v25, v3, v30
	v_dual_add_f32 v3, v30, v3 :: v_dual_sub_f32 v30, v167, v174
	v_sub_f32_e32 v34, v165, v171
	v_sub_f32_e32 v26, v169, v26
	v_dual_add_f32 v39, v33, v29 :: v_dual_sub_f32 v40, v32, v28
	v_sub_f32_e32 v28, v28, v36
	v_sub_f32_e32 v32, v36, v32
	v_add_f32_e32 v36, v36, v38
	v_add_f32_e32 v24, v31, v2
	v_sub_f32_e32 v2, v2, v31
	v_sub_f32_e32 v31, v168, v175
	;; [unrolled: 1-line block ×5, first 2 shown]
	v_dual_sub_f32 v33, v37, v33 :: v_dual_add_f32 v42, v26, v34
	v_sub_f32_e32 v44, v26, v34
	v_dual_sub_f32 v46, v34, v30 :: v_dual_add_f32 v37, v37, v39
	v_dual_add_f32 v34, v36, v14 :: v_dual_add_f32 v43, v27, v35
	v_sub_f32_e32 v45, v27, v35
	v_sub_f32_e32 v47, v35, v31
	s_delay_alu instid0(VALU_DEP_4) | instskip(NEXT) | instid1(VALU_DEP_4)
	v_dual_add_f32 v35, v37, v15 :: v_dual_mul_f32 v38, 0xbf08b237, v44
	v_mov_b32_e32 v44, v34
	v_sub_f32_e32 v26, v30, v26
	v_add_f32_e32 v30, v42, v30
	v_dual_mul_f32 v14, 0x3f4a47b2, v28 :: v_dual_mul_f32 v15, 0x3f4a47b2, v29
	v_dual_mul_f32 v28, 0x3d64c772, v32 :: v_dual_mul_f32 v29, 0x3d64c772, v33
	v_mul_f32_e32 v42, 0xbf5ff5aa, v46
	v_fmac_f32_e32 v44, 0xbf955555, v36
	v_mov_b32_e32 v36, v35
	v_sub_f32_e32 v27, v31, v27
	v_add_f32_e32 v31, v43, v31
	v_mul_f32_e32 v39, 0xbf08b237, v45
	v_mul_f32_e32 v43, 0xbf5ff5aa, v47
	v_fmac_f32_e32 v36, 0xbf955555, v37
	v_dual_fmamk_f32 v32, v32, 0x3d64c772, v14 :: v_dual_fmamk_f32 v33, v33, 0x3d64c772, v15
	v_fma_f32 v28, 0x3f3bfb3b, v40, -v28
	v_fma_f32 v29, 0x3f3bfb3b, v41, -v29
	;; [unrolled: 1-line block ×4, first 2 shown]
	v_fmamk_f32 v40, v26, 0x3eae86e6, v38
	v_fma_f32 v38, 0x3f5ff5aa, v46, -v38
	v_fmac_f32_e32 v42, 0xbeae86e6, v26
	v_fmamk_f32 v41, v27, 0x3eae86e6, v39
	v_fma_f32 v39, 0x3f5ff5aa, v47, -v39
	v_fmac_f32_e32 v43, 0xbeae86e6, v27
	v_add_f32_e32 v27, v29, v36
	v_dual_add_f32 v15, v15, v36 :: v_dual_fmac_f32 v38, 0x3ee1c552, v30
	v_fmac_f32_e32 v42, 0x3ee1c552, v30
	v_mov_b32_e32 v190, v109
	v_add_f32_e32 v46, v33, v36
	v_add_f32_e32 v26, v28, v44
	;; [unrolled: 1-line block ×3, first 2 shown]
	v_dual_fmac_f32 v40, 0x3ee1c552, v30 :: v_dual_fmac_f32 v41, 0x3ee1c552, v31
	v_fmac_f32_e32 v39, 0x3ee1c552, v31
	v_fmac_f32_e32 v43, 0x3ee1c552, v31
	v_sub_f32_e32 v31, v15, v42
	v_add_f32_e32 v33, v38, v27
	v_sub_f32_e32 v27, v27, v38
	v_add_f32_e32 v29, v42, v15
	v_add_f32_e32 v38, v149, v159
	v_dual_add_f32 v42, v111, v157 :: v_dual_add_f32 v45, v32, v44
	v_dual_sub_f32 v37, v46, v40 :: v_dual_add_f32 v30, v43, v14
	v_sub_f32_e32 v32, v26, v39
	v_add_f32_e32 v26, v39, v26
	v_dual_sub_f32 v28, v14, v43 :: v_dual_add_f32 v15, v40, v46
	v_add_f32_e32 v39, v150, v164
	v_dual_add_f32 v43, v138, v158 :: v_dual_add_f32 v46, v139, v151
	v_dual_add_f32 v50, v42, v38 :: v_dual_add_f32 v47, v148, v156
	s_delay_alu instid0(VALU_DEP_2) | instskip(SKIP_1) | instid1(VALU_DEP_3)
	v_dual_add_f32 v36, v41, v45 :: v_dual_add_f32 v51, v43, v39
	v_sub_f32_e32 v14, v45, v41
	v_add_f32_e32 v50, v46, v50
	v_dual_sub_f32 v44, v111, v157 :: v_dual_sub_f32 v45, v138, v158
	v_sub_f32_e32 v52, v42, v38
	v_sub_f32_e32 v38, v38, v46
	v_dual_sub_f32 v42, v46, v42 :: v_dual_add_f32 v51, v47, v51
	v_dual_add_f32 v46, v50, v8 :: v_dual_mul_f32 v109, v76, v143
	v_dual_sub_f32 v40, v149, v159 :: v_dual_sub_f32 v41, v150, v164
	v_sub_f32_e32 v53, v43, v39
	v_sub_f32_e32 v39, v39, v47
	v_dual_sub_f32 v43, v47, v43 :: v_dual_add_f32 v54, v48, v44
	v_dual_add_f32 v55, v49, v45 :: v_dual_sub_f32 v58, v48, v44
	v_sub_f32_e32 v59, v49, v45
	v_dual_add_f32 v47, v51, v9 :: v_dual_mov_b32 v76, v46
	v_dual_sub_f32 v48, v40, v48 :: v_dual_sub_f32 v49, v41, v49
	v_dual_sub_f32 v44, v44, v40 :: v_dual_sub_f32 v45, v45, v41
	v_dual_add_f32 v40, v54, v40 :: v_dual_add_f32 v41, v55, v41
	v_dual_mul_f32 v8, 0x3f4a47b2, v38 :: v_dual_mul_f32 v9, 0x3f4a47b2, v39
	v_dual_mul_f32 v38, 0x3d64c772, v42 :: v_dual_mul_f32 v39, 0x3d64c772, v43
	;; [unrolled: 1-line block ×3, first 2 shown]
	v_fmac_f32_e32 v76, 0xbf955555, v50
	v_mov_b32_e32 v50, v47
	v_dual_mul_f32 v58, 0xbf5ff5aa, v44 :: v_dual_mul_f32 v59, 0xbf5ff5aa, v45
	v_fmamk_f32 v43, v43, 0x3d64c772, v9
	v_fma_f32 v38, 0x3f3bfb3b, v52, -v38
	s_delay_alu instid0(VALU_DEP_4)
	v_fmac_f32_e32 v50, 0xbf955555, v51
	v_fma_f32 v39, 0x3f3bfb3b, v53, -v39
	v_fma_f32 v9, 0xbf3bfb3b, v53, -v9
	v_fmamk_f32 v51, v48, 0x3eae86e6, v54
	v_fma_f32 v53, 0x3f5ff5aa, v44, -v54
	v_fma_f32 v54, 0x3f5ff5aa, v45, -v55
	v_fmamk_f32 v42, v42, 0x3d64c772, v8
	v_fma_f32 v8, 0xbf3bfb3b, v52, -v8
	v_fmamk_f32 v52, v49, 0x3eae86e6, v55
	v_dual_fmac_f32 v58, 0xbeae86e6, v48 :: v_dual_fmac_f32 v59, 0xbeae86e6, v49
	v_add_f32_e32 v38, v38, v76
	v_dual_fmac_f32 v54, 0x3ee1c552, v41 :: v_dual_fmac_f32 v109, v77, v142
	v_add_f32_e32 v55, v42, v76
	v_add_f32_e32 v77, v43, v50
	v_dual_add_f32 v39, v39, v50 :: v_dual_add_f32 v8, v8, v76
	v_add_f32_e32 v9, v9, v50
	v_dual_fmac_f32 v51, 0x3ee1c552, v40 :: v_dual_fmac_f32 v52, 0x3ee1c552, v41
	v_dual_fmac_f32 v58, 0x3ee1c552, v40 :: v_dual_fmac_f32 v59, 0x3ee1c552, v41
	v_sub_f32_e32 v44, v38, v54
	v_add_f32_e32 v38, v54, v38
	v_add_f32_e32 v50, v72, v136
	v_dual_add_f32 v54, v61, v106 :: v_dual_fmac_f32 v53, 0x3ee1c552, v40
	v_add_f32_e32 v48, v52, v55
	v_dual_sub_f32 v49, v77, v51 :: v_dual_add_f32 v42, v59, v8
	v_dual_sub_f32 v43, v9, v58 :: v_dual_sub_f32 v40, v8, v59
	v_dual_add_f32 v41, v58, v9 :: v_dual_sub_f32 v8, v55, v52
	v_add_f32_e32 v9, v51, v77
	v_add_f32_e32 v51, v73, v137
	v_dual_add_f32 v55, v70, v107 :: v_dual_sub_f32 v58, v61, v106
	v_add_f32_e32 v61, v60, v57
	v_dual_sub_f32 v57, v57, v60 :: v_dual_add_f32 v60, v54, v50
	v_dual_sub_f32 v52, v72, v136 :: v_dual_sub_f32 v59, v70, v107
	v_add_f32_e32 v70, v56, v71
	v_sub_f32_e32 v56, v71, v56
	s_delay_alu instid0(VALU_DEP_4)
	v_dual_add_f32 v71, v55, v51 :: v_dual_add_f32 v60, v61, v60
	v_add_f32_e32 v45, v53, v39
	v_sub_f32_e32 v39, v39, v53
	v_dual_sub_f32 v53, v73, v137 :: v_dual_sub_f32 v72, v54, v50
	v_sub_f32_e32 v50, v50, v61
	v_sub_f32_e32 v54, v61, v54
	v_add_f32_e32 v76, v57, v58
	v_dual_sub_f32 v92, v57, v58 :: v_dual_sub_f32 v107, v58, v52
	v_dual_add_f32 v61, v70, v71 :: v_dual_add_f32 v58, v60, v10
	v_sub_f32_e32 v73, v55, v51
	v_sub_f32_e32 v51, v51, v70
	;; [unrolled: 1-line block ×3, first 2 shown]
	v_add_f32_e32 v77, v56, v59
	v_dual_sub_f32 v106, v56, v59 :: v_dual_sub_f32 v111, v59, v53
	v_dual_add_f32 v59, v61, v11 :: v_dual_mul_f32 v70, 0xbf08b237, v92
	v_dual_mov_b32 v92, v58 :: v_dual_sub_f32 v57, v52, v57
	v_add_f32_e32 v52, v76, v52
	v_dual_mul_f32 v10, 0x3f4a47b2, v50 :: v_dual_mul_f32 v11, 0x3f4a47b2, v51
	v_dual_mul_f32 v50, 0x3d64c772, v54 :: v_dual_mul_f32 v51, 0x3d64c772, v55
	v_mul_f32_e32 v76, 0xbf5ff5aa, v107
	v_fmac_f32_e32 v92, 0xbf955555, v60
	v_mov_b32_e32 v60, v59
	v_sub_f32_e32 v56, v53, v56
	v_add_f32_e32 v53, v77, v53
	v_mul_f32_e32 v71, 0xbf08b237, v106
	v_mul_f32_e32 v77, 0xbf5ff5aa, v111
	v_fmac_f32_e32 v60, 0xbf955555, v61
	v_dual_fmamk_f32 v54, v54, 0x3d64c772, v10 :: v_dual_fmamk_f32 v55, v55, 0x3d64c772, v11
	v_fma_f32 v50, 0x3f3bfb3b, v72, -v50
	v_fma_f32 v51, 0x3f3bfb3b, v73, -v51
	;; [unrolled: 1-line block ×4, first 2 shown]
	v_fmamk_f32 v72, v57, 0x3eae86e6, v70
	v_fma_f32 v70, 0x3f5ff5aa, v107, -v70
	v_fmac_f32_e32 v76, 0xbeae86e6, v57
	v_fmamk_f32 v73, v56, 0x3eae86e6, v71
	v_fma_f32 v71, 0x3f5ff5aa, v111, -v71
	v_fmac_f32_e32 v77, 0xbeae86e6, v56
	v_add_f32_e32 v107, v55, v60
	v_add_f32_e32 v51, v51, v60
	;; [unrolled: 1-line block ×3, first 2 shown]
	v_fmac_f32_e32 v72, 0x3ee1c552, v52
	v_fmac_f32_e32 v70, 0x3ee1c552, v52
	v_fmac_f32_e32 v76, 0x3ee1c552, v52
	v_add_f32_e32 v106, v54, v92
	v_add_f32_e32 v50, v50, v92
	v_dual_add_f32 v10, v10, v92 :: v_dual_fmac_f32 v73, 0x3ee1c552, v53
	v_fmac_f32_e32 v71, 0x3ee1c552, v53
	v_fmac_f32_e32 v77, 0x3ee1c552, v53
	v_sub_f32_e32 v61, v107, v72
	v_sub_f32_e32 v55, v11, v76
	v_add_f32_e32 v57, v70, v51
	v_sub_f32_e32 v51, v51, v70
	v_add_f32_e32 v53, v76, v11
	v_add_f32_e32 v11, v72, v107
	v_add_f32_e32 v70, v64, v134
	v_add_f32_e32 v72, v62, v104
	v_add_f32_e32 v60, v73, v106
	v_add_f32_e32 v54, v77, v10
	v_sub_f32_e32 v56, v50, v71
	v_add_f32_e32 v50, v71, v50
	v_sub_f32_e32 v52, v10, v77
	v_dual_sub_f32 v10, v106, v73 :: v_dual_add_f32 v71, v65, v135
	v_dual_add_f32 v73, v63, v105 :: v_dual_sub_f32 v62, v62, v104
	v_add_f32_e32 v76, v66, v68
	v_sub_f32_e32 v66, v68, v66
	v_add_f32_e32 v68, v72, v70
	v_dual_sub_f32 v64, v64, v134 :: v_dual_sub_f32 v63, v63, v105
	v_add_f32_e32 v77, v67, v69
	v_sub_f32_e32 v67, v69, v67
	v_dual_add_f32 v69, v73, v71 :: v_dual_sub_f32 v92, v72, v70
	v_sub_f32_e32 v105, v70, v76
	v_add_f32_e32 v70, v66, v62
	v_dual_add_f32 v68, v76, v68 :: v_dual_sub_f32 v65, v65, v135
	v_sub_f32_e32 v104, v73, v71
	v_sub_f32_e32 v106, v71, v77
	v_add_f32_e32 v71, v67, v63
	v_sub_f32_e32 v107, v66, v62
	v_sub_f32_e32 v66, v64, v66
	v_dual_sub_f32 v62, v62, v64 :: v_dual_add_f32 v69, v77, v69
	v_add_f32_e32 v64, v70, v64
	v_add_f32_e32 v70, v68, v4
	v_dual_sub_f32 v72, v76, v72 :: v_dual_sub_f32 v73, v77, v73
	v_sub_f32_e32 v111, v67, v63
	v_sub_f32_e32 v67, v65, v67
	;; [unrolled: 1-line block ×3, first 2 shown]
	v_add_f32_e32 v65, v71, v65
	v_dual_add_f32 v71, v69, v5 :: v_dual_mov_b32 v116, v70
	v_dual_mul_f32 v4, 0x3f4a47b2, v105 :: v_dual_mul_f32 v5, 0x3f4a47b2, v106
	v_dual_mul_f32 v76, 0x3d64c772, v72 :: v_dual_mul_f32 v77, 0x3d64c772, v73
	v_mul_f32_e32 v105, 0xbf08b237, v107
	v_mul_f32_e32 v106, 0xbf08b237, v111
	v_mul_f32_e32 v111, 0xbf5ff5aa, v63
	v_fmac_f32_e32 v116, 0xbf955555, v68
	v_dual_mov_b32 v68, v71 :: v_dual_mul_f32 v107, 0xbf5ff5aa, v62
	s_delay_alu instid0(VALU_DEP_3) | instskip(NEXT) | instid1(VALU_DEP_2)
	v_fmac_f32_e32 v111, 0xbeae86e6, v67
	v_fmac_f32_e32 v68, 0xbf955555, v69
	v_dual_fmamk_f32 v69, v72, 0x3d64c772, v4 :: v_dual_fmamk_f32 v72, v73, 0x3d64c772, v5
	v_fma_f32 v73, 0x3f3bfb3b, v92, -v76
	v_fma_f32 v76, 0x3f3bfb3b, v104, -v77
	;; [unrolled: 1-line block ×4, first 2 shown]
	v_fmamk_f32 v92, v67, 0x3eae86e6, v106
	v_fma_f32 v104, 0x3f5ff5aa, v62, -v105
	v_fma_f32 v62, 0x3f5ff5aa, v63, -v106
	v_fmamk_f32 v77, v66, 0x3eae86e6, v105
	v_fmac_f32_e32 v107, 0xbeae86e6, v66
	v_add_f32_e32 v105, v69, v116
	v_add_f32_e32 v63, v73, v116
	;; [unrolled: 1-line block ×4, first 2 shown]
	v_fmac_f32_e32 v92, 0x3ee1c552, v65
	v_fmac_f32_e32 v104, 0x3ee1c552, v64
	;; [unrolled: 1-line block ×3, first 2 shown]
	v_dual_fmac_f32 v111, 0x3ee1c552, v65 :: v_dual_add_f32 v106, v72, v68
	v_add_f32_e32 v5, v5, v68
	v_fmac_f32_e32 v77, 0x3ee1c552, v64
	v_dual_fmac_f32 v107, 0x3ee1c552, v64 :: v_dual_add_f32 v72, v92, v105
	s_delay_alu instid0(VALU_DEP_4)
	v_add_f32_e32 v66, v111, v4
	v_dual_sub_f32 v68, v63, v62 :: v_dual_add_f32 v69, v104, v76
	v_dual_add_f32 v62, v62, v63 :: v_dual_sub_f32 v63, v76, v104
	v_sub_f32_e32 v64, v4, v111
	v_sub_f32_e32 v4, v105, v92
	v_add_f32_e32 v76, v74, v132
	v_dual_add_f32 v92, v80, v90 :: v_dual_sub_f32 v73, v106, v77
	v_sub_f32_e32 v67, v5, v107
	v_add_f32_e32 v65, v107, v5
	v_add_f32_e32 v5, v77, v106
	v_dual_add_f32 v77, v75, v133 :: v_dual_add_f32 v104, v81, v91
	v_sub_f32_e32 v80, v80, v90
	v_add_f32_e32 v90, v78, v88
	v_sub_f32_e32 v78, v88, v78
	v_dual_add_f32 v88, v92, v76 :: v_dual_sub_f32 v81, v81, v91
	v_add_f32_e32 v91, v79, v89
	v_sub_f32_e32 v79, v89, v79
	s_delay_alu instid0(VALU_DEP_3) | instskip(SKIP_2) | instid1(VALU_DEP_3)
	v_dual_add_f32 v89, v104, v77 :: v_dual_add_f32 v88, v90, v88
	v_sub_f32_e32 v105, v92, v76
	v_sub_f32_e32 v76, v76, v90
	v_dual_sub_f32 v92, v90, v92 :: v_dual_add_f32 v89, v91, v89
	s_delay_alu instid0(VALU_DEP_4)
	v_add_f32_e32 v90, v88, v6
	v_dual_sub_f32 v74, v74, v132 :: v_dual_sub_f32 v75, v75, v133
	v_dual_sub_f32 v106, v104, v77 :: v_dual_sub_f32 v77, v77, v91
	v_sub_f32_e32 v104, v91, v104
	v_add_f32_e32 v107, v78, v80
	v_dual_add_f32 v111, v79, v81 :: v_dual_sub_f32 v116, v78, v80
	v_sub_f32_e32 v117, v79, v81
	v_dual_add_f32 v91, v89, v7 :: v_dual_mov_b32 v118, v90
	v_dual_sub_f32 v78, v74, v78 :: v_dual_sub_f32 v79, v75, v79
	v_dual_sub_f32 v80, v80, v74 :: v_dual_sub_f32 v81, v81, v75
	v_add_f32_e32 v74, v107, v74
	v_dual_add_f32 v75, v111, v75 :: v_dual_mul_f32 v6, 0x3f4a47b2, v76
	v_mul_f32_e32 v7, 0x3f4a47b2, v77
	v_mul_f32_e32 v76, 0x3d64c772, v92
	;; [unrolled: 1-line block ×4, first 2 shown]
	v_fmac_f32_e32 v118, 0xbf955555, v88
	v_dual_mov_b32 v88, v91 :: v_dual_mul_f32 v77, 0x3d64c772, v104
	v_dual_mul_f32 v116, 0xbf5ff5aa, v80 :: v_dual_mul_f32 v117, 0xbf5ff5aa, v81
	v_fma_f32 v76, 0x3f3bfb3b, v105, -v76
	s_delay_alu instid0(VALU_DEP_3)
	v_fmac_f32_e32 v88, 0xbf955555, v89
	v_fmamk_f32 v89, v92, 0x3d64c772, v6
	v_fmamk_f32 v92, v104, 0x3d64c772, v7
	v_fma_f32 v6, 0xbf3bfb3b, v105, -v6
	v_fmamk_f32 v104, v78, 0x3eae86e6, v107
	v_fmamk_f32 v105, v79, 0x3eae86e6, v111
	v_fma_f32 v77, 0x3f3bfb3b, v106, -v77
	v_fma_f32 v7, 0xbf3bfb3b, v106, -v7
	;; [unrolled: 1-line block ×4, first 2 shown]
	v_dual_fmac_f32 v116, 0xbeae86e6, v78 :: v_dual_fmac_f32 v117, 0xbeae86e6, v79
	v_dual_add_f32 v111, v89, v118 :: v_dual_add_f32 v92, v92, v88
	v_dual_fmac_f32 v104, 0x3ee1c552, v74 :: v_dual_fmac_f32 v105, 0x3ee1c552, v75
	v_dual_add_f32 v79, v77, v88 :: v_dual_fmac_f32 v106, 0x3ee1c552, v74
	s_delay_alu instid0(VALU_DEP_4) | instskip(SKIP_1) | instid1(VALU_DEP_4)
	v_dual_fmac_f32 v107, 0x3ee1c552, v75 :: v_dual_fmac_f32 v116, 0x3ee1c552, v74
	v_fmac_f32_e32 v117, 0x3ee1c552, v75
	v_dual_add_f32 v80, v105, v111 :: v_dual_sub_f32 v81, v92, v104
	v_dual_sub_f32 v74, v111, v105 :: v_dual_add_f32 v75, v104, v92
	v_dual_add_f32 v92, v82, v108 :: v_dual_add_f32 v105, v96, v102
	v_add_f32_e32 v119, v7, v88
	v_add_f32_e32 v89, v106, v79
	v_sub_f32_e32 v7, v79, v106
	v_add_f32_e32 v104, v83, v109
	v_add_f32_e32 v106, v97, v103
	v_sub_f32_e32 v96, v96, v102
	v_add_f32_e32 v102, v98, v100
	v_sub_f32_e32 v98, v100, v98
	;; [unrolled: 2-line block ×4, first 2 shown]
	v_add_f32_e32 v101, v106, v104
	v_add_f32_e32 v100, v102, v100
	;; [unrolled: 1-line block ×3, first 2 shown]
	v_dual_add_f32 v118, v6, v118 :: v_dual_sub_f32 v83, v83, v109
	s_delay_alu instid0(VALU_DEP_3) | instskip(NEXT) | instid1(VALU_DEP_3)
	v_dual_add_f32 v101, v103, v101 :: v_dual_add_f32 v0, v100, v0
	v_sub_f32_e32 v88, v78, v107
	s_delay_alu instid0(VALU_DEP_3)
	v_add_f32_e32 v76, v117, v118
	v_add_f32_e32 v6, v107, v78
	v_dual_sub_f32 v78, v118, v117 :: v_dual_sub_f32 v107, v105, v92
	v_dual_sub_f32 v92, v92, v102 :: v_dual_add_f32 v111, v99, v97
	v_sub_f32_e32 v117, v99, v97
	v_sub_f32_e32 v97, v97, v83
	v_dual_add_f32 v1, v101, v1 :: v_dual_mov_b32 v118, v0
	v_sub_f32_e32 v82, v82, v108
	v_sub_f32_e32 v108, v106, v104
	v_dual_sub_f32 v104, v104, v103 :: v_dual_sub_f32 v105, v102, v105
	v_sub_f32_e32 v106, v103, v106
	v_sub_f32_e32 v99, v83, v99
	v_dual_add_f32 v83, v111, v83 :: v_dual_mul_f32 v92, 0x3f4a47b2, v92
	v_mul_f32_e32 v111, 0xbf08b237, v117
	v_mul_f32_e32 v117, 0xbf5ff5aa, v97
	v_fmac_f32_e32 v118, 0xbf955555, v100
	v_dual_mov_b32 v100, v1 :: v_dual_sub_f32 v77, v119, v116
	v_add_f32_e32 v79, v116, v119
	v_add_f32_e32 v109, v98, v96
	v_sub_f32_e32 v116, v98, v96
	v_sub_f32_e32 v96, v96, v82
	v_mul_f32_e32 v102, 0x3f4a47b2, v104
	v_dual_mul_f32 v103, 0x3d64c772, v105 :: v_dual_mul_f32 v104, 0x3d64c772, v106
	v_fmac_f32_e32 v100, 0xbf955555, v101
	v_fmamk_f32 v101, v105, 0x3d64c772, v92
	v_fma_f32 v92, 0xbf3bfb3b, v107, -v92
	v_dual_fmac_f32 v117, 0xbeae86e6, v99 :: v_dual_sub_f32 v98, v82, v98
	v_dual_add_f32 v82, v109, v82 :: v_dual_mul_f32 v109, 0xbf08b237, v116
	v_mul_f32_e32 v116, 0xbf5ff5aa, v96
	v_fmamk_f32 v105, v106, 0x3d64c772, v102
	v_fma_f32 v103, 0x3f3bfb3b, v107, -v103
	v_fma_f32 v104, 0x3f3bfb3b, v108, -v104
	;; [unrolled: 1-line block ×3, first 2 shown]
	v_dual_add_f32 v92, v92, v118 :: v_dual_fmac_f32 v117, 0x3ee1c552, v83
	v_fmamk_f32 v106, v98, 0x3eae86e6, v109
	v_fmamk_f32 v107, v99, 0x3eae86e6, v111
	v_fma_f32 v97, 0x3f5ff5aa, v97, -v111
	v_fmac_f32_e32 v116, 0xbeae86e6, v98
	v_add_f32_e32 v111, v101, v118
	v_add_f32_e32 v105, v105, v100
	v_dual_add_f32 v101, v103, v118 :: v_dual_add_f32 v104, v104, v100
	v_add_f32_e32 v118, v102, v100
	v_add_f32_e32 v98, v117, v92
	v_sub_f32_e32 v100, v92, v117
	v_and_b32_e32 v92, 0xffff, v126
	v_fma_f32 v96, 0x3f5ff5aa, v96, -v109
	v_dual_fmac_f32 v106, 0x3ee1c552, v82 :: v_dual_fmac_f32 v107, 0x3ee1c552, v83
	v_fmac_f32_e32 v97, 0x3ee1c552, v83
	s_delay_alu instid0(VALU_DEP_4) | instskip(NEXT) | instid1(VALU_DEP_4)
	v_mul_u32_u24_e32 v92, 49, v92
	v_fmac_f32_e32 v96, 0x3ee1c552, v82
	v_fmac_f32_e32 v116, 0x3ee1c552, v82
	v_dual_add_f32 v108, v107, v111 :: v_dual_sub_f32 v109, v105, v106
	s_delay_alu instid0(VALU_DEP_4) | instskip(NEXT) | instid1(VALU_DEP_4)
	v_add_lshl_u32 v92, v92, v127, 3
	v_dual_sub_f32 v102, v101, v97 :: v_dual_add_f32 v103, v96, v104
	v_dual_add_f32 v82, v97, v101 :: v_dual_sub_f32 v83, v104, v96
	scratch_store_b32 off, v92, off offset:672 ; 4-byte Folded Spill
	ds_store_2addr_b64 v92, v[22:23], v[24:25] offset1:7
	ds_store_2addr_b64 v92, v[18:19], v[20:21] offset0:14 offset1:21
	ds_store_2addr_b64 v92, v[12:13], v[16:17] offset0:28 offset1:35
	ds_store_b64 v92, v[2:3] offset:336
	v_and_b32_e32 v2, 0xffff, v124
	v_dual_sub_f32 v96, v111, v107 :: v_dual_add_f32 v97, v106, v105
	v_mad_u64_u32 v[106:107], null, v131, 48, s[6:7]
	s_delay_alu instid0(VALU_DEP_3) | instskip(SKIP_2) | instid1(VALU_DEP_3)
	v_mul_u32_u24_e32 v2, 49, v2
	v_sub_f32_e32 v99, v118, v116
	v_add_f32_e32 v101, v116, v118
	v_add_lshl_u32 v2, v2, v125, 3
	scratch_store_b32 off, v2, off offset:692 ; 4-byte Folded Spill
	ds_store_2addr_b64 v2, v[34:35], v[36:37] offset1:7
	ds_store_2addr_b64 v2, v[30:31], v[32:33] offset0:14 offset1:21
	ds_store_2addr_b64 v2, v[26:27], v[28:29] offset0:28 offset1:35
	ds_store_b64 v2, v[14:15] offset:336
	v_and_b32_e32 v2, 0xffff, v122
	s_delay_alu instid0(VALU_DEP_1) | instskip(NEXT) | instid1(VALU_DEP_1)
	v_mul_u32_u24_e32 v2, 49, v2
	v_add_lshl_u32 v2, v2, v123, 3
	scratch_store_b32 off, v2, off offset:700 ; 4-byte Folded Spill
	ds_store_2addr_b64 v2, v[46:47], v[48:49] offset1:7
	ds_store_2addr_b64 v2, v[42:43], v[44:45] offset0:14 offset1:21
	ds_store_2addr_b64 v2, v[38:39], v[40:41] offset0:28 offset1:35
	ds_store_b64 v2, v[8:9] offset:336
	v_and_b32_e32 v2, 0xffff, v114
	s_delay_alu instid0(VALU_DEP_1) | instskip(NEXT) | instid1(VALU_DEP_1)
	v_mul_u32_u24_e32 v2, 49, v2
	;; [unrolled: 9-line block ×3, first 2 shown]
	v_add_lshl_u32 v2, v2, v113, 3
	scratch_store_b32 off, v2, off offset:728 ; 4-byte Folded Spill
	ds_store_2addr_b64 v2, v[70:71], v[72:73] offset1:7
	ds_store_2addr_b64 v2, v[66:67], v[68:69] offset0:14 offset1:21
	ds_store_2addr_b64 v2, v[62:63], v[64:65] offset0:28 offset1:35
	ds_store_b64 v2, v[4:5] offset:336
	v_mad_u16 v2, v120, 49, v121
	s_delay_alu instid0(VALU_DEP_1) | instskip(NEXT) | instid1(VALU_DEP_1)
	v_and_b32_e32 v2, 0xffff, v2
	v_lshlrev_b32_e32 v2, 3, v2
	ds_store_2addr_b64 v2, v[90:91], v[80:81] offset1:7
	scratch_store_b32 off, v2, off offset:696 ; 4-byte Folded Spill
	ds_store_2addr_b64 v2, v[76:77], v[88:89] offset0:14 offset1:21
	ds_store_2addr_b64 v2, v[6:7], v[78:79] offset0:28 offset1:35
	ds_store_b64 v2, v[74:75] offset:336
	v_mad_u16 v2, v93, 49, v94
	s_delay_alu instid0(VALU_DEP_1) | instskip(NEXT) | instid1(VALU_DEP_1)
	v_and_b32_e32 v2, 0xffff, v2
	v_lshlrev_b32_e32 v2, 3, v2
	ds_store_2addr_b64 v2, v[0:1], v[108:109] offset1:7
	scratch_store_b32 off, v2, off offset:704 ; 4-byte Folded Spill
	ds_store_2addr_b64 v2, v[98:99], v[102:103] offset0:14 offset1:21
	ds_store_2addr_b64 v2, v[82:83], v[100:101] offset0:28 offset1:35
	ds_store_b64 v2, v[96:97] offset:336
	s_waitcnt lgkmcnt(0)
	s_waitcnt_vscnt null, 0x0
	s_barrier
	buffer_gl0_inv
	ds_load_2addr_b64 v[12:15], v110 offset1:49
	ds_load_2addr_b64 v[3:6], v188 offset0:38 offset1:87
	ds_load_2addr_b64 v[80:83], v189 offset0:174 offset1:223
	;; [unrolled: 1-line block ×23, first 2 shown]
	ds_load_b64 v[60:61], v110 offset:18816
	s_clause 0x2
	global_load_b128 v[120:123], v[106:107], off offset:368
	global_load_b128 v[76:79], v[106:107], off offset:352
	;; [unrolled: 1-line block ×3, first 2 shown]
	s_waitcnt vmcnt(2) lgkmcnt(18)
	v_mul_f32_e32 v114, v94, v123
	s_waitcnt vmcnt(1)
	v_mul_f32_e32 v116, v26, v77
	s_waitcnt vmcnt(0)
	v_mul_f32_e32 v0, v6, v67
	v_dual_mul_f32 v2, v5, v67 :: v_dual_mul_f32 v173, v80, v69
	v_mul_f32_e32 v118, v88, v79
	v_mul_f32_e32 v252, v82, v69
	s_delay_alu instid0(VALU_DEP_4) | instskip(SKIP_4) | instid1(VALU_DEP_3)
	v_fma_f32 v115, v5, v66, -v0
	v_mul_f32_e32 v0, v81, v69
	s_waitcnt lgkmcnt(17)
	v_dual_mul_f32 v5, v97, v67 :: v_dual_fmac_f32 v2, v6, v66
	v_dual_mul_f32 v254, v90, v79 :: v_dual_fmac_f32 v173, v81, v68
	v_fma_f32 v119, v80, v68, -v0
	v_mul_f32_e32 v0, v27, v77
	v_fmac_f32_e32 v118, v89, v78
	v_fmac_f32_e32 v252, v83, v68
	;; [unrolled: 1-line block ×3, first 2 shown]
	s_waitcnt lgkmcnt(16)
	v_mul_f32_e32 v250, v100, v77
	v_fma_f32 v1, v26, v76, -v0
	v_fma_f32 v26, v96, v66, -v5
	v_dual_mul_f32 v5, v83, v69 :: v_dual_mul_f32 v0, v89, v79
	v_fmac_f32_e32 v114, v95, v122
	v_dual_fmac_f32 v116, v27, v76 :: v_dual_mul_f32 v27, v96, v67
	s_delay_alu instid0(VALU_DEP_3) | instskip(SKIP_2) | instid1(VALU_DEP_4)
	v_fma_f32 v251, v82, v68, -v5
	v_mul_f32_e32 v5, v101, v77
	v_fma_f32 v117, v88, v78, -v0
	v_dual_mul_f32 v0, v19, v121 :: v_dual_fmac_f32 v27, v97, v66
	v_fmac_f32_e32 v250, v101, v76
	s_delay_alu instid0(VALU_DEP_4) | instskip(SKIP_1) | instid1(VALU_DEP_4)
	v_fma_f32 v249, v100, v76, -v5
	v_mul_f32_e32 v5, v91, v79
	v_fma_f32 v131, v18, v120, -v0
	v_mul_f32_e32 v18, v18, v121
	v_mul_f32_e32 v0, v93, v123
	s_delay_alu instid0(VALU_DEP_4) | instskip(SKIP_1) | instid1(VALU_DEP_3)
	v_fma_f32 v253, v90, v78, -v5
	s_waitcnt lgkmcnt(15)
	v_dual_mul_f32 v5, v133, v121 :: v_dual_fmac_f32 v18, v19, v120
	s_delay_alu instid0(VALU_DEP_3) | instskip(SKIP_2) | instid1(VALU_DEP_4)
	v_fma_f32 v19, v92, v122, -v0
	v_mul_f32_e32 v0, v92, v123
	v_mul_f32_e32 v92, v132, v121
	v_fma_f32 v255, v132, v120, -v5
	v_mul_f32_e32 v5, v95, v123
	s_delay_alu instid0(VALU_DEP_4) | instskip(NEXT) | instid1(VALU_DEP_4)
	v_dual_sub_f32 v7, v115, v19 :: v_dual_fmac_f32 v0, v93, v122
	v_fmac_f32_e32 v92, v133, v120
	s_delay_alu instid0(VALU_DEP_3) | instskip(SKIP_1) | instid1(VALU_DEP_1)
	v_fma_f32 v113, v94, v122, -v5
	v_mul_lo_u16 v5, 0x4f, v84
	v_lshrrev_b16 v5, 8, v5
	s_delay_alu instid0(VALU_DEP_1) | instskip(NEXT) | instid1(VALU_DEP_1)
	v_sub_nc_u16 v6, v112, v5
	v_lshrrev_b16 v6, 1, v6
	s_delay_alu instid0(VALU_DEP_1) | instskip(NEXT) | instid1(VALU_DEP_1)
	v_and_b32_e32 v6, 0x7f, v6
	v_add_nc_u16 v5, v6, v5
	s_delay_alu instid0(VALU_DEP_1) | instskip(NEXT) | instid1(VALU_DEP_1)
	v_lshrrev_b16 v5, 5, v5
	v_mul_lo_u16 v5, v5, 49
	s_delay_alu instid0(VALU_DEP_1) | instskip(NEXT) | instid1(VALU_DEP_1)
	v_sub_nc_u16 v5, v112, v5
	v_and_b32_e32 v175, 0xff, v5
	s_delay_alu instid0(VALU_DEP_1)
	v_mad_u64_u32 v[5:6], null, v175, 48, s[6:7]
	s_clause 0x2
	global_load_b128 v[80:83], v[5:6], off offset:368
	global_load_b128 v[88:91], v[5:6], off offset:352
	;; [unrolled: 1-line block ×3, first 2 shown]
	s_waitcnt vmcnt(2)
	scratch_store_b128 off, v[80:83], off offset:900 ; 16-byte Folded Spill
	s_waitcnt vmcnt(0) lgkmcnt(12)
	v_dual_mul_f32 v244, v166, v91 :: v_dual_mul_f32 v5, v99, v125
	scratch_store_b128 off, v[88:91], off offset:884 ; 16-byte Folded Spill
	s_waitcnt lgkmcnt(11)
	v_mul_f32_e32 v248, v72, v83
	v_mul_f32_e32 v242, v102, v89
	v_fmac_f32_e32 v244, v167, v90
	v_fma_f32 v183, v98, v124, -v5
	v_mul_f32_e32 v5, v137, v127
	v_fmac_f32_e32 v248, v73, v82
	v_fmac_f32_e32 v242, v103, v88
	v_mul_f32_e32 v240, v98, v125
	s_delay_alu instid0(VALU_DEP_4) | instskip(SKIP_1) | instid1(VALU_DEP_3)
	v_fma_f32 v181, v136, v126, -v5
	v_mul_f32_e32 v5, v103, v89
	v_fmac_f32_e32 v240, v99, v124
	s_delay_alu instid0(VALU_DEP_2) | instskip(SKIP_1) | instid1(VALU_DEP_1)
	v_fma_f32 v241, v102, v88, -v5
	v_mul_f32_e32 v5, v167, v91
	v_fma_f32 v243, v166, v90, -v5
	v_mul_f32_e32 v5, v135, v81
	s_delay_alu instid0(VALU_DEP_1) | instskip(SKIP_1) | instid1(VALU_DEP_1)
	v_fma_f32 v245, v134, v80, -v5
	v_mul_f32_e32 v5, v73, v83
	v_fma_f32 v247, v72, v82, -v5
	v_mul_lo_u16 v5, 0x4f, v85
	s_delay_alu instid0(VALU_DEP_1) | instskip(NEXT) | instid1(VALU_DEP_1)
	v_lshrrev_b16 v5, 8, v5
	v_sub_nc_u16 v6, v128, v5
	s_delay_alu instid0(VALU_DEP_1) | instskip(NEXT) | instid1(VALU_DEP_1)
	v_lshrrev_b16 v6, 1, v6
	v_and_b32_e32 v6, 0x7f, v6
	s_delay_alu instid0(VALU_DEP_1) | instskip(NEXT) | instid1(VALU_DEP_1)
	v_add_nc_u16 v5, v6, v5
	v_lshrrev_b16 v5, 5, v5
	s_delay_alu instid0(VALU_DEP_1) | instskip(NEXT) | instid1(VALU_DEP_1)
	v_mul_lo_u16 v5, v5, 49
	v_sub_nc_u16 v5, v128, v5
	s_delay_alu instid0(VALU_DEP_1) | instskip(NEXT) | instid1(VALU_DEP_1)
	v_and_b32_e32 v174, 0xff, v5
	v_mad_u64_u32 v[5:6], null, v174, 48, s[6:7]
	s_clause 0x2
	global_load_b128 v[148:151], v[5:6], off offset:368
	global_load_b128 v[156:159], v[5:6], off offset:352
	;; [unrolled: 1-line block ×3, first 2 shown]
	s_waitcnt vmcnt(2)
	v_mul_f32_e32 v180, v74, v151
	s_waitcnt vmcnt(1)
	v_mul_f32_e32 v89, v168, v159
	s_waitcnt vmcnt(0) lgkmcnt(10)
	v_mul_f32_e32 v5, v57, v165
	v_dual_mul_f32 v73, v56, v165 :: v_dual_mul_f32 v88, v138, v167
	v_fmac_f32_e32 v180, v75, v150
	v_fmac_f32_e32 v89, v169, v158
	s_delay_alu instid0(VALU_DEP_4) | instskip(SKIP_4) | instid1(VALU_DEP_3)
	v_fma_f32 v72, v56, v164, -v5
	v_mul_f32_e32 v5, v139, v167
	v_dual_fmac_f32 v73, v57, v164 :: v_dual_fmac_f32 v88, v139, v166
	s_waitcnt lgkmcnt(8)
	v_mul_f32_e32 v132, v48, v149
	v_fma_f32 v57, v138, v166, -v5
	v_mul_f32_e32 v5, v53, v157
	s_delay_alu instid0(VALU_DEP_3) | instskip(NEXT) | instid1(VALU_DEP_2)
	v_fmac_f32_e32 v132, v49, v148
	v_fma_f32 v56, v52, v156, -v5
	v_dual_mul_f32 v52, v52, v157 :: v_dual_mul_f32 v5, v169, v159
	s_delay_alu instid0(VALU_DEP_1) | instskip(NEXT) | instid1(VALU_DEP_2)
	v_fmac_f32_e32 v52, v53, v156
	v_fma_f32 v53, v168, v158, -v5
	v_mul_f32_e32 v5, v49, v149
	s_delay_alu instid0(VALU_DEP_1) | instskip(SKIP_1) | instid1(VALU_DEP_1)
	v_fma_f32 v111, v48, v148, -v5
	v_mul_f32_e32 v5, v75, v151
	v_fma_f32 v133, v74, v150, -v5
	v_mul_lo_u16 v5, 0x4f, v86
	s_delay_alu instid0(VALU_DEP_1) | instskip(NEXT) | instid1(VALU_DEP_1)
	v_lshrrev_b16 v5, 8, v5
	v_sub_nc_u16 v6, v129, v5
	s_delay_alu instid0(VALU_DEP_1) | instskip(NEXT) | instid1(VALU_DEP_1)
	v_lshrrev_b16 v6, 1, v6
	v_and_b32_e32 v6, 0x7f, v6
	s_delay_alu instid0(VALU_DEP_1) | instskip(NEXT) | instid1(VALU_DEP_1)
	v_add_nc_u16 v5, v6, v5
	v_lshrrev_b16 v5, 5, v5
	s_delay_alu instid0(VALU_DEP_1) | instskip(NEXT) | instid1(VALU_DEP_1)
	v_mul_lo_u16 v5, v5, 49
	v_sub_nc_u16 v5, v129, v5
	s_delay_alu instid0(VALU_DEP_1) | instskip(NEXT) | instid1(VALU_DEP_1)
	v_and_b32_e32 v112, 0xff, v5
	v_mad_u64_u32 v[5:6], null, v112, 48, s[6:7]
	s_clause 0x2
	global_load_b128 v[168:171], v[5:6], off offset:368
	global_load_b128 v[176:179], v[5:6], off offset:352
	global_load_b128 v[188:191], v[5:6], off offset:336
	s_waitcnt vmcnt(2)
	v_mul_f32_e32 v103, v50, v169
	s_waitcnt lgkmcnt(4)
	v_mul_f32_e32 v105, v36, v171
	s_waitcnt vmcnt(0)
	v_mul_f32_e32 v5, v59, v189
	v_mul_f32_e32 v71, v44, v191
	;; [unrolled: 1-line block ×3, first 2 shown]
	v_fmac_f32_e32 v103, v51, v168
	v_fmac_f32_e32 v105, v37, v170
	v_fma_f32 v74, v58, v188, -v5
	v_mul_f32_e32 v5, v45, v191
	v_dual_fmac_f32 v71, v45, v190 :: v_dual_mul_f32 v246, v134, v81
	v_dual_fmac_f32 v75, v59, v188 :: v_dual_mul_f32 v182, v136, v127
	s_delay_alu instid0(VALU_DEP_3) | instskip(SKIP_1) | instid1(VALU_DEP_4)
	v_fma_f32 v70, v44, v190, -v5
	v_mul_f32_e32 v5, v55, v177
	v_dual_fmac_f32 v246, v135, v80 :: v_dual_mul_f32 v101, v40, v179
	s_delay_alu instid0(VALU_DEP_4) | instskip(NEXT) | instid1(VALU_DEP_3)
	v_dual_fmac_f32 v182, v137, v126 :: v_dual_mul_f32 v91, v54, v177
	v_fma_f32 v90, v54, v176, -v5
	v_mul_f32_e32 v5, v41, v179
	s_delay_alu instid0(VALU_DEP_4) | instskip(NEXT) | instid1(VALU_DEP_4)
	v_fmac_f32_e32 v101, v41, v178
	v_fmac_f32_e32 v91, v55, v176
	s_delay_alu instid0(VALU_DEP_3) | instskip(SKIP_1) | instid1(VALU_DEP_1)
	v_fma_f32 v100, v40, v178, -v5
	v_mul_f32_e32 v5, v51, v169
	v_fma_f32 v102, v50, v168, -v5
	v_mul_f32_e32 v5, v37, v171
	s_delay_alu instid0(VALU_DEP_1) | instskip(SKIP_1) | instid1(VALU_DEP_1)
	v_fma_f32 v104, v36, v170, -v5
	v_mul_u32_u24_e32 v5, 0x4e5f, v87
	v_lshrrev_b32_e32 v5, 16, v5
	s_delay_alu instid0(VALU_DEP_1) | instskip(NEXT) | instid1(VALU_DEP_1)
	v_sub_nc_u16 v6, v130, v5
	v_lshrrev_b16 v6, 1, v6
	s_delay_alu instid0(VALU_DEP_1) | instskip(NEXT) | instid1(VALU_DEP_1)
	v_add_nc_u16 v5, v6, v5
	v_lshrrev_b16 v5, 5, v5
	s_delay_alu instid0(VALU_DEP_1) | instskip(NEXT) | instid1(VALU_DEP_1)
	v_mul_lo_u16 v5, v5, 49
	v_sub_nc_u16 v95, v130, v5
	s_delay_alu instid0(VALU_DEP_1) | instskip(NEXT) | instid1(VALU_DEP_1)
	v_mul_lo_u16 v5, v95, 48
	v_and_b32_e32 v5, 0xffff, v5
	s_delay_alu instid0(VALU_DEP_1) | instskip(NEXT) | instid1(VALU_DEP_1)
	v_add_co_u32 v5, s2, s6, v5
	v_add_co_ci_u32_e64 v6, null, s7, 0, s2
	s_clause 0x2
	global_load_b128 v[200:203], v[5:6], off offset:368
	global_load_b128 v[204:207], v[5:6], off offset:352
	global_load_b128 v[208:211], v[5:6], off offset:336
	s_waitcnt vmcnt(2)
	v_mul_f32_e32 v130, v38, v203
	s_waitcnt lgkmcnt(1)
	v_mul_f32_e32 v128, v20, v201
	s_waitcnt vmcnt(0)
	v_mul_f32_e32 v5, v33, v209
	v_mul_f32_e32 v96, v32, v209
	;; [unrolled: 1-line block ×3, first 2 shown]
	v_dual_fmac_f32 v130, v39, v202 :: v_dual_mul_f32 v81, v28, v205
	s_delay_alu instid0(VALU_DEP_4) | instskip(NEXT) | instid1(VALU_DEP_4)
	v_fma_f32 v93, v32, v208, -v5
	v_dual_mul_f32 v5, v47, v211 :: v_dual_fmac_f32 v96, v33, v208
	s_delay_alu instid0(VALU_DEP_4) | instskip(SKIP_2) | instid1(VALU_DEP_4)
	v_fmac_f32_e32 v98, v47, v210
	v_mul_f32_e32 v108, v42, v207
	v_fmac_f32_e32 v128, v21, v200
	v_fma_f32 v97, v46, v210, -v5
	v_mul_f32_e32 v5, v29, v205
	s_delay_alu instid0(VALU_DEP_4) | instskip(NEXT) | instid1(VALU_DEP_2)
	v_dual_fmac_f32 v81, v29, v204 :: v_dual_fmac_f32 v108, v43, v206
	v_fma_f32 v80, v28, v204, -v5
	v_mul_f32_e32 v5, v43, v207
	v_sub_f32_e32 v43, v244, v242
	s_delay_alu instid0(VALU_DEP_2) | instskip(SKIP_2) | instid1(VALU_DEP_2)
	v_fma_f32 v99, v42, v206, -v5
	v_mul_f32_e32 v5, v21, v201
	v_dual_sub_f32 v21, v118, v116 :: v_dual_sub_f32 v42, v243, v241
	v_fma_f32 v109, v20, v200, -v5
	v_dual_mul_f32 v5, v39, v203 :: v_dual_add_f32 v20, v116, v118
	s_delay_alu instid0(VALU_DEP_1) | instskip(SKIP_1) | instid1(VALU_DEP_1)
	v_fma_f32 v129, v38, v202, -v5
	v_mul_u32_u24_e32 v5, 0x4e5f, v212
	v_lshrrev_b32_e32 v5, 16, v5
	s_delay_alu instid0(VALU_DEP_1) | instskip(NEXT) | instid1(VALU_DEP_1)
	v_sub_nc_u16 v6, v213, v5
	v_lshrrev_b16 v6, 1, v6
	s_delay_alu instid0(VALU_DEP_1) | instskip(NEXT) | instid1(VALU_DEP_1)
	v_add_nc_u16 v5, v6, v5
	v_lshrrev_b16 v5, 5, v5
	s_delay_alu instid0(VALU_DEP_1) | instskip(NEXT) | instid1(VALU_DEP_1)
	v_mul_lo_u16 v5, v5, 49
	v_sub_nc_u16 v94, v213, v5
	s_delay_alu instid0(VALU_DEP_1) | instskip(NEXT) | instid1(VALU_DEP_1)
	v_mul_lo_u16 v5, v94, 48
	v_and_b32_e32 v5, 0xffff, v5
	s_delay_alu instid0(VALU_DEP_1) | instskip(NEXT) | instid1(VALU_DEP_1)
	v_add_co_u32 v5, s2, s6, v5
	v_add_co_ci_u32_e64 v6, null, s7, 0, s2
	s_clause 0x2
	global_load_b128 v[36:39], v[5:6], off offset:368
	global_load_b128 v[212:215], v[5:6], off offset:352
	;; [unrolled: 1-line block ×3, first 2 shown]
	v_add_f32_e32 v6, v2, v0
	v_sub_f32_e32 v0, v2, v0
	v_add_f32_e32 v2, v119, v131
	s_mov_b32 s2, 0x5cf97efd
	s_mov_b32 s3, 0x3f3b4b98
	s_waitcnt vmcnt(2)
	v_mul_f32_e32 v137, v22, v37
	s_waitcnt vmcnt(1)
	v_mul_f32_e32 v135, v16, v215
	;; [unrolled: 2-line block ×3, first 2 shown]
	v_mul_f32_e32 v85, v24, v227
	v_mul_f32_e32 v87, v30, v213
	v_fmac_f32_e32 v137, v23, v36
	v_fmac_f32_e32 v135, v17, v214
	v_fma_f32 v82, v34, v224, -v5
	v_mul_f32_e32 v5, v25, v227
	v_fmac_f32_e32 v85, v25, v226
	v_fmac_f32_e32 v87, v31, v212
	v_mul_f32_e32 v83, v34, v225
	s_waitcnt lgkmcnt(0)
	v_mul_f32_e32 v139, v60, v39
	v_fma_f32 v84, v24, v226, -v5
	v_mul_f32_e32 v5, v31, v213
	scratch_store_b128 off, v[36:39], off offset:956 ; 16-byte Folded Spill
	v_fmac_f32_e32 v83, v35, v224
	v_fmac_f32_e32 v139, v61, v38
	s_waitcnt_vscnt null, 0x0
	v_fma_f32 v86, v30, v212, -v5
	v_mul_f32_e32 v5, v17, v215
	v_sub_f32_e32 v17, v119, v131
	s_barrier
	buffer_gl0_inv
	v_fma_f32 v134, v16, v214, -v5
	v_dual_mul_f32 v5, v23, v37 :: v_dual_add_f32 v16, v173, v18
	v_sub_f32_e32 v18, v173, v18
	s_delay_alu instid0(VALU_DEP_2) | instskip(SKIP_1) | instid1(VALU_DEP_4)
	v_fma_f32 v136, v22, v36, -v5
	v_mul_f32_e32 v5, v61, v39
	v_add_f32_e32 v23, v16, v6
	v_dual_sub_f32 v25, v16, v6 :: v_dual_sub_f32 v6, v6, v20
	v_sub_f32_e32 v16, v20, v16
	s_delay_alu instid0(VALU_DEP_4) | instskip(SKIP_3) | instid1(VALU_DEP_3)
	v_fma_f32 v138, v60, v38, -v5
	v_add_f32_e32 v5, v115, v19
	v_add_f32_e32 v19, v1, v117
	v_dual_sub_f32 v1, v117, v1 :: v_dual_add_f32 v20, v20, v23
	v_dual_add_f32 v29, v21, v18 :: v_dual_add_f32 v22, v2, v5
	s_delay_alu instid0(VALU_DEP_3) | instskip(SKIP_1) | instid1(VALU_DEP_3)
	v_dual_sub_f32 v24, v2, v5 :: v_dual_sub_f32 v5, v5, v19
	v_sub_f32_e32 v2, v19, v2
	v_dual_add_f32 v28, v1, v17 :: v_dual_add_f32 v19, v19, v22
	v_sub_f32_e32 v30, v1, v17
	v_sub_f32_e32 v17, v17, v7
	v_add_f32_e32 v23, v20, v13
	s_delay_alu instid0(VALU_DEP_4) | instskip(SKIP_2) | instid1(VALU_DEP_3)
	v_dual_sub_f32 v31, v21, v18 :: v_dual_add_f32 v22, v19, v12
	v_dual_sub_f32 v1, v7, v1 :: v_dual_sub_f32 v18, v18, v0
	v_add_f32_e32 v7, v28, v7
	v_dual_mul_f32 v5, 0x3f4a47b2, v5 :: v_dual_mov_b32 v32, v22
	v_mul_f32_e32 v6, 0x3f4a47b2, v6
	v_mul_f32_e32 v13, 0x3d64c772, v16
	;; [unrolled: 1-line block ×4, first 2 shown]
	v_dual_fmac_f32 v32, 0xbf955555, v19 :: v_dual_mov_b32 v19, v23
	v_dual_sub_f32 v21, v0, v21 :: v_dual_add_f32 v0, v29, v0
	v_mul_f32_e32 v12, 0x3d64c772, v2
	v_mul_f32_e32 v29, 0xbf08b237, v31
	;; [unrolled: 1-line block ×3, first 2 shown]
	v_fmac_f32_e32 v19, 0xbf955555, v20
	v_fmamk_f32 v2, v2, 0x3d64c772, v5
	v_fmamk_f32 v16, v16, 0x3d64c772, v6
	v_fma_f32 v13, 0x3f3bfb3b, v25, -v13
	v_fma_f32 v6, 0xbf3bfb3b, v25, -v6
	v_fmamk_f32 v33, v1, 0x3eae86e6, v28
	v_fma_f32 v17, 0x3f5ff5aa, v17, -v28
	v_fmac_f32_e32 v30, 0xbeae86e6, v1
	v_fma_f32 v5, 0xbf3bfb3b, v24, -v5
	v_fmamk_f32 v34, v21, 0x3eae86e6, v29
	v_fma_f32 v28, 0x3f5ff5aa, v18, -v29
	v_fmac_f32_e32 v31, 0xbeae86e6, v21
	v_dual_add_f32 v1, v2, v32 :: v_dual_add_f32 v2, v16, v19
	v_add_f32_e32 v13, v13, v19
	v_add_f32_e32 v6, v6, v19
	v_fmac_f32_e32 v33, 0x3ee1c552, v7
	v_fmac_f32_e32 v17, 0x3ee1c552, v7
	;; [unrolled: 1-line block ×3, first 2 shown]
	v_fma_f32 v12, 0x3f3bfb3b, v24, -v12
	v_add_f32_e32 v5, v5, v32
	v_fmac_f32_e32 v34, 0x3ee1c552, v0
	v_fmac_f32_e32 v28, 0x3ee1c552, v0
	;; [unrolled: 1-line block ×3, first 2 shown]
	v_sub_f32_e32 v25, v2, v33
	v_sub_f32_e32 v19, v6, v30
	v_add_f32_e32 v21, v17, v13
	v_sub_f32_e32 v13, v13, v17
	v_add_f32_e32 v17, v30, v6
	v_add_f32_e32 v6, v33, v2
	v_add_f32_e32 v0, v26, v113
	v_sub_f32_e32 v2, v26, v113
	v_add_f32_e32 v26, v251, v255
	v_add_f32_e32 v12, v12, v32
	;; [unrolled: 1-line block ×4, first 2 shown]
	v_sub_f32_e32 v16, v5, v31
	v_sub_f32_e32 v5, v1, v34
	v_add_f32_e32 v1, v27, v114
	v_sub_f32_e32 v7, v27, v114
	v_dual_add_f32 v27, v252, v92 :: v_dual_add_f32 v30, v249, v253
	v_add_f32_e32 v34, v26, v0
	v_sub_f32_e32 v20, v12, v28
	v_add_f32_e32 v12, v28, v12
	v_dual_sub_f32 v28, v251, v255 :: v_dual_add_f32 v31, v250, v254
	v_sub_f32_e32 v32, v253, v249
	v_dual_add_f32 v35, v27, v1 :: v_dual_sub_f32 v36, v26, v0
	v_sub_f32_e32 v0, v0, v30
	v_sub_f32_e32 v26, v30, v26
	v_dual_add_f32 v30, v30, v34 :: v_dual_sub_f32 v29, v252, v92
	v_sub_f32_e32 v33, v254, v250
	v_sub_f32_e32 v37, v27, v1
	;; [unrolled: 1-line block ×3, first 2 shown]
	v_dual_sub_f32 v27, v31, v27 :: v_dual_sub_f32 v40, v32, v28
	v_dual_add_f32 v31, v31, v35 :: v_dual_add_f32 v44, v30, v14
	v_add_f32_e32 v39, v33, v29
	v_sub_f32_e32 v41, v33, v29
	v_sub_f32_e32 v29, v29, v7
	s_delay_alu instid0(VALU_DEP_4)
	v_dual_add_f32 v45, v31, v15 :: v_dual_mul_f32 v34, 0xbf08b237, v40
	v_mov_b32_e32 v40, v44
	v_add_f32_e32 v38, v32, v28
	v_dual_sub_f32 v32, v2, v32 :: v_dual_sub_f32 v33, v7, v33
	v_dual_sub_f32 v28, v28, v2 :: v_dual_add_f32 v7, v39, v7
	v_dual_mul_f32 v0, 0x3f4a47b2, v0 :: v_dual_mul_f32 v1, 0x3f4a47b2, v1
	v_mul_f32_e32 v14, 0x3d64c772, v26
	v_mul_f32_e32 v35, 0xbf08b237, v41
	;; [unrolled: 1-line block ×3, first 2 shown]
	v_fmac_f32_e32 v40, 0xbf955555, v30
	v_mov_b32_e32 v30, v45
	v_dual_add_f32 v2, v38, v2 :: v_dual_mul_f32 v15, 0x3d64c772, v27
	v_mul_f32_e32 v38, 0xbf5ff5aa, v28
	v_fmamk_f32 v26, v26, 0x3d64c772, v0
	s_delay_alu instid0(VALU_DEP_4)
	v_fmac_f32_e32 v30, 0xbf955555, v31
	v_fmamk_f32 v27, v27, 0x3d64c772, v1
	v_fma_f32 v14, 0x3f3bfb3b, v36, -v14
	v_fma_f32 v0, 0xbf3bfb3b, v36, -v0
	v_fmamk_f32 v36, v32, 0x3eae86e6, v34
	v_fma_f32 v41, 0x3f5ff5aa, v29, -v35
	v_fmac_f32_e32 v39, 0xbeae86e6, v33
	v_fma_f32 v15, 0x3f3bfb3b, v37, -v15
	v_fma_f32 v1, 0xbf3bfb3b, v37, -v1
	v_fmamk_f32 v37, v33, 0x3eae86e6, v35
	v_fma_f32 v31, 0x3f5ff5aa, v28, -v34
	v_dual_fmac_f32 v38, 0xbeae86e6, v32 :: v_dual_add_f32 v27, v27, v30
	v_add_f32_e32 v14, v14, v40
	v_add_f32_e32 v0, v0, v40
	v_dual_fmac_f32 v36, 0x3ee1c552, v2 :: v_dual_fmac_f32 v41, 0x3ee1c552, v7
	v_dual_fmac_f32 v39, 0x3ee1c552, v7 :: v_dual_add_f32 v26, v26, v40
	v_add_f32_e32 v15, v15, v30
	v_add_f32_e32 v1, v1, v30
	v_fmac_f32_e32 v37, 0x3ee1c552, v7
	v_fmac_f32_e32 v31, 0x3ee1c552, v2
	v_dual_fmac_f32 v38, 0x3ee1c552, v2 :: v_dual_sub_f32 v33, v27, v36
	v_add_f32_e32 v34, v39, v0
	v_sub_f32_e32 v28, v14, v41
	v_add_f32_e32 v30, v41, v14
	v_sub_f32_e32 v14, v0, v39
	v_add_f32_e32 v27, v36, v27
	v_add_f32_e32 v0, v183, v247
	;; [unrolled: 1-line block ×4, first 2 shown]
	v_sub_f32_e32 v35, v1, v38
	v_add_f32_e32 v29, v31, v15
	v_sub_f32_e32 v31, v15, v31
	v_add_f32_e32 v15, v38, v1
	v_dual_sub_f32 v26, v26, v37 :: v_dual_add_f32 v1, v240, v248
	v_dual_add_f32 v37, v182, v246 :: v_dual_add_f32 v40, v241, v243
	v_add_f32_e32 v46, v36, v0
	v_add_f32_e32 v41, v242, v244
	s_delay_alu instid0(VALU_DEP_3) | instskip(NEXT) | instid1(VALU_DEP_4)
	v_dual_sub_f32 v48, v36, v0 :: v_dual_add_f32 v47, v37, v1
	v_sub_f32_e32 v0, v0, v40
	v_sub_f32_e32 v36, v40, v36
	v_add_f32_e32 v40, v40, v46
	v_dual_sub_f32 v7, v240, v248 :: v_dual_sub_f32 v38, v181, v245
	v_sub_f32_e32 v39, v182, v246
	v_sub_f32_e32 v49, v37, v1
	;; [unrolled: 1-line block ×4, first 2 shown]
	v_dual_add_f32 v41, v41, v47 :: v_dual_add_f32 v46, v40, v8
	v_sub_f32_e32 v2, v183, v247
	v_dual_add_f32 v50, v42, v38 :: v_dual_add_f32 v51, v43, v39
	v_dual_sub_f32 v54, v42, v38 :: v_dual_sub_f32 v55, v43, v39
	v_sub_f32_e32 v39, v39, v7
	v_dual_add_f32 v47, v41, v9 :: v_dual_mov_b32 v58, v46
	v_dual_sub_f32 v42, v2, v42 :: v_dual_sub_f32 v43, v7, v43
	v_sub_f32_e32 v38, v38, v2
	v_dual_add_f32 v2, v50, v2 :: v_dual_add_f32 v7, v51, v7
	v_mul_f32_e32 v0, 0x3f4a47b2, v0
	v_mul_f32_e32 v9, 0x3d64c772, v37
	v_dual_mul_f32 v50, 0xbf08b237, v54 :: v_dual_mul_f32 v51, 0xbf08b237, v55
	v_mul_f32_e32 v55, 0xbf5ff5aa, v39
	v_fmac_f32_e32 v58, 0xbf955555, v40
	v_dual_mov_b32 v40, v47 :: v_dual_mul_f32 v1, 0x3f4a47b2, v1
	v_mul_f32_e32 v8, 0x3d64c772, v36
	v_mul_f32_e32 v54, 0xbf5ff5aa, v38
	v_fmamk_f32 v36, v36, 0x3d64c772, v0
	s_delay_alu instid0(VALU_DEP_4)
	v_fmac_f32_e32 v40, 0xbf955555, v41
	v_fma_f32 v9, 0x3f3bfb3b, v49, -v9
	v_fma_f32 v0, 0xbf3bfb3b, v48, -v0
	v_fmamk_f32 v60, v43, 0x3eae86e6, v51
	v_fma_f32 v38, 0x3f5ff5aa, v38, -v50
	v_fmac_f32_e32 v55, 0xbeae86e6, v43
	v_fmamk_f32 v37, v37, 0x3d64c772, v1
	v_fma_f32 v8, 0x3f3bfb3b, v48, -v8
	v_fma_f32 v1, 0xbf3bfb3b, v49, -v1
	v_fmamk_f32 v59, v42, 0x3eae86e6, v50
	v_fma_f32 v39, 0x3f5ff5aa, v39, -v51
	v_fmac_f32_e32 v54, 0xbeae86e6, v42
	v_dual_add_f32 v50, v36, v58 :: v_dual_add_f32 v9, v9, v40
	v_add_f32_e32 v0, v0, v58
	v_fmac_f32_e32 v60, 0x3ee1c552, v7
	v_dual_fmac_f32 v38, 0x3ee1c552, v2 :: v_dual_fmac_f32 v55, 0x3ee1c552, v7
	v_dual_add_f32 v51, v37, v40 :: v_dual_add_f32 v8, v8, v58
	v_add_f32_e32 v1, v1, v40
	v_fmac_f32_e32 v59, 0x3ee1c552, v2
	v_dual_fmac_f32 v39, 0x3ee1c552, v7 :: v_dual_fmac_f32 v54, 0x3ee1c552, v2
	v_add_f32_e32 v48, v60, v50
	v_dual_add_f32 v40, v55, v0 :: v_dual_add_f32 v43, v38, v9
	v_dual_sub_f32 v9, v9, v38 :: v_dual_sub_f32 v36, v0, v55
	v_sub_f32_e32 v38, v50, v60
	v_add_f32_e32 v0, v72, v133
	v_add_f32_e32 v50, v57, v111
	v_sub_f32_e32 v49, v51, v59
	v_dual_sub_f32 v41, v1, v54 :: v_dual_sub_f32 v42, v8, v39
	v_dual_add_f32 v8, v39, v8 :: v_dual_add_f32 v37, v54, v1
	v_add_f32_e32 v39, v59, v51
	v_add_f32_e32 v1, v73, v180
	v_dual_add_f32 v51, v88, v132 :: v_dual_sub_f32 v54, v57, v111
	v_add_f32_e32 v57, v56, v53
	v_sub_f32_e32 v53, v53, v56
	v_add_f32_e32 v56, v50, v0
	v_add_f32_e32 v58, v52, v89
	;; [unrolled: 1-line block ×3, first 2 shown]
	v_sub_f32_e32 v7, v73, v180
	v_sub_f32_e32 v55, v88, v132
	v_add_f32_e32 v56, v57, v56
	v_sub_f32_e32 v52, v89, v52
	v_dual_sub_f32 v60, v50, v0 :: v_dual_sub_f32 v61, v51, v1
	v_dual_sub_f32 v0, v0, v57 :: v_dual_sub_f32 v1, v1, v58
	;; [unrolled: 1-line block ×3, first 2 shown]
	v_dual_add_f32 v57, v58, v59 :: v_dual_add_f32 v58, v56, v10
	v_sub_f32_e32 v2, v72, v133
	v_dual_add_f32 v72, v53, v54 :: v_dual_add_f32 v73, v52, v55
	v_dual_sub_f32 v88, v53, v54 :: v_dual_sub_f32 v89, v52, v55
	v_sub_f32_e32 v55, v55, v7
	v_dual_add_f32 v59, v57, v11 :: v_dual_mov_b32 v92, v58
	v_dual_sub_f32 v53, v2, v53 :: v_dual_sub_f32 v52, v7, v52
	v_sub_f32_e32 v54, v54, v2
	v_dual_add_f32 v2, v72, v2 :: v_dual_add_f32 v7, v73, v7
	v_dual_mul_f32 v0, 0x3f4a47b2, v0 :: v_dual_mul_f32 v1, 0x3f4a47b2, v1
	v_mul_f32_e32 v10, 0x3d64c772, v50
	v_dual_mul_f32 v72, 0xbf08b237, v88 :: v_dual_mul_f32 v73, 0xbf08b237, v89
	v_mul_f32_e32 v89, 0xbf5ff5aa, v55
	v_fmac_f32_e32 v92, 0xbf955555, v56
	v_dual_mov_b32 v56, v59 :: v_dual_mul_f32 v11, 0x3d64c772, v51
	v_mul_f32_e32 v88, 0xbf5ff5aa, v54
	v_dual_fmamk_f32 v50, v50, 0x3d64c772, v0 :: v_dual_fmamk_f32 v51, v51, 0x3d64c772, v1
	s_delay_alu instid0(VALU_DEP_3)
	v_fmac_f32_e32 v56, 0xbf955555, v57
	v_fma_f32 v10, 0x3f3bfb3b, v60, -v10
	v_fma_f32 v0, 0xbf3bfb3b, v60, -v0
	v_fmamk_f32 v60, v53, 0x3eae86e6, v72
	v_fmac_f32_e32 v89, 0xbeae86e6, v52
	v_fma_f32 v11, 0x3f3bfb3b, v61, -v11
	v_fma_f32 v1, 0xbf3bfb3b, v61, -v1
	v_fmamk_f32 v61, v52, 0x3eae86e6, v73
	v_dual_fmac_f32 v88, 0xbeae86e6, v53 :: v_dual_add_f32 v53, v51, v56
	v_add_f32_e32 v0, v0, v92
	v_dual_fmac_f32 v60, 0x3ee1c552, v2 :: v_dual_fmac_f32 v89, 0x3ee1c552, v7
	v_fma_f32 v111, 0x3f5ff5aa, v54, -v72
	v_fma_f32 v113, 0x3f5ff5aa, v55, -v73
	v_add_f32_e32 v52, v50, v92
	v_add_f32_e32 v1, v1, v56
	v_dual_fmac_f32 v61, 0x3ee1c552, v7 :: v_dual_fmac_f32 v88, 0x3ee1c552, v2
	v_sub_f32_e32 v73, v53, v60
	v_add_f32_e32 v54, v89, v0
	v_sub_f32_e32 v50, v0, v89
	v_dual_add_f32 v53, v60, v53 :: v_dual_add_f32 v0, v74, v104
	v_add_f32_e32 v60, v70, v102
	v_dual_fmac_f32 v111, 0x3ee1c552, v2 :: v_dual_add_f32 v72, v61, v52
	v_sub_f32_e32 v55, v1, v88
	v_add_f32_e32 v51, v88, v1
	v_sub_f32_e32 v52, v52, v61
	v_dual_add_f32 v1, v75, v105 :: v_dual_sub_f32 v2, v74, v104
	v_dual_add_f32 v61, v71, v103 :: v_dual_sub_f32 v70, v70, v102
	v_add_f32_e32 v74, v90, v100
	v_sub_f32_e32 v88, v100, v90
	v_add_f32_e32 v90, v60, v0
	v_dual_add_f32 v10, v10, v92 :: v_dual_fmac_f32 v113, 0x3ee1c552, v7
	v_sub_f32_e32 v7, v75, v105
	v_sub_f32_e32 v71, v71, v103
	v_add_f32_e32 v75, v91, v101
	v_sub_f32_e32 v89, v101, v91
	v_dual_add_f32 v91, v61, v1 :: v_dual_sub_f32 v92, v60, v0
	v_sub_f32_e32 v0, v0, v74
	v_sub_f32_e32 v60, v74, v60
	v_add_f32_e32 v100, v88, v70
	v_add_f32_e32 v74, v74, v90
	v_sub_f32_e32 v102, v61, v1
	v_sub_f32_e32 v1, v1, v75
	;; [unrolled: 1-line block ×3, first 2 shown]
	v_add_f32_e32 v101, v89, v71
	v_dual_sub_f32 v103, v88, v70 :: v_dual_sub_f32 v88, v2, v88
	v_dual_sub_f32 v70, v70, v2 :: v_dual_add_f32 v75, v75, v91
	v_add_f32_e32 v2, v100, v2
	v_add_f32_e32 v100, v74, v62
	v_dual_sub_f32 v104, v89, v71 :: v_dual_sub_f32 v89, v7, v89
	v_sub_f32_e32 v71, v71, v7
	v_add_f32_e32 v7, v101, v7
	v_add_f32_e32 v101, v75, v63
	v_dual_mul_f32 v90, 0xbf08b237, v103 :: v_dual_mov_b32 v103, v100
	v_add_f32_e32 v11, v11, v56
	v_dual_mul_f32 v0, 0x3f4a47b2, v0 :: v_dual_mul_f32 v1, 0x3f4a47b2, v1
	v_dual_mul_f32 v62, 0x3d64c772, v60 :: v_dual_mul_f32 v63, 0x3d64c772, v61
	v_mul_f32_e32 v91, 0xbf08b237, v104
	v_mul_f32_e32 v105, 0xbf5ff5aa, v71
	v_dual_fmac_f32 v103, 0xbf955555, v74 :: v_dual_mov_b32 v74, v101
	v_add_f32_e32 v57, v111, v11
	v_dual_sub_f32 v11, v11, v111 :: v_dual_mul_f32 v104, 0xbf5ff5aa, v70
	v_fmamk_f32 v60, v60, 0x3d64c772, v0
	s_delay_alu instid0(VALU_DEP_4)
	v_fmac_f32_e32 v74, 0xbf955555, v75
	v_fmamk_f32 v61, v61, 0x3d64c772, v1
	v_fma_f32 v62, 0x3f3bfb3b, v92, -v62
	v_fma_f32 v63, 0x3f3bfb3b, v102, -v63
	;; [unrolled: 1-line block ×3, first 2 shown]
	v_fmamk_f32 v111, v89, 0x3eae86e6, v91
	v_fma_f32 v70, 0x3f5ff5aa, v70, -v90
	v_fma_f32 v71, 0x3f5ff5aa, v71, -v91
	v_fmac_f32_e32 v105, 0xbeae86e6, v89
	v_fma_f32 v1, 0xbf3bfb3b, v102, -v1
	v_fmamk_f32 v92, v88, 0x3eae86e6, v90
	v_fmac_f32_e32 v104, 0xbeae86e6, v88
	v_dual_add_f32 v88, v60, v103 :: v_dual_add_f32 v89, v61, v74
	v_dual_add_f32 v60, v62, v103 :: v_dual_add_f32 v61, v63, v74
	v_add_f32_e32 v0, v0, v103
	v_dual_fmac_f32 v111, 0x3ee1c552, v7 :: v_dual_fmac_f32 v70, 0x3ee1c552, v2
	v_fmac_f32_e32 v71, 0x3ee1c552, v7
	v_fmac_f32_e32 v105, 0x3ee1c552, v7
	v_add_f32_e32 v1, v1, v74
	v_fmac_f32_e32 v92, 0x3ee1c552, v2
	v_fmac_f32_e32 v104, 0x3ee1c552, v2
	v_add_f32_e32 v102, v111, v88
	v_add_f32_e32 v74, v105, v0
	v_dual_sub_f32 v90, v60, v71 :: v_dual_add_f32 v91, v70, v61
	v_dual_add_f32 v62, v71, v60 :: v_dual_sub_f32 v63, v61, v70
	v_sub_f32_e32 v60, v0, v105
	v_sub_f32_e32 v70, v88, v111
	v_add_f32_e32 v0, v93, v129
	v_add_f32_e32 v88, v97, v109
	v_sub_f32_e32 v103, v89, v92
	v_sub_f32_e32 v75, v1, v104
	v_add_f32_e32 v61, v104, v1
	v_add_f32_e32 v71, v92, v89
	v_dual_add_f32 v1, v96, v130 :: v_dual_sub_f32 v2, v93, v129
	v_sub_f32_e32 v7, v96, v130
	v_add_f32_e32 v89, v98, v128
	v_dual_sub_f32 v93, v98, v128 :: v_dual_add_f32 v96, v80, v99
	v_add_f32_e32 v98, v88, v0
	v_sub_f32_e32 v92, v97, v109
	v_add_f32_e32 v97, v81, v108
	v_dual_sub_f32 v80, v99, v80 :: v_dual_sub_f32 v81, v108, v81
	v_dual_add_f32 v99, v89, v1 :: v_dual_sub_f32 v104, v88, v0
	v_sub_f32_e32 v0, v0, v96
	v_sub_f32_e32 v88, v96, v88
	v_add_f32_e32 v96, v96, v98
	v_sub_f32_e32 v56, v10, v113
	v_add_f32_e32 v10, v113, v10
	v_sub_f32_e32 v105, v89, v1
	v_sub_f32_e32 v1, v1, v97
	v_dual_sub_f32 v89, v97, v89 :: v_dual_add_f32 v108, v80, v92
	v_add_f32_e32 v109, v81, v93
	v_sub_f32_e32 v111, v80, v92
	v_sub_f32_e32 v113, v81, v93
	;; [unrolled: 1-line block ×3, first 2 shown]
	v_dual_add_f32 v97, v97, v99 :: v_dual_add_f32 v132, v96, v64
	v_dual_sub_f32 v80, v2, v80 :: v_dual_sub_f32 v81, v7, v81
	v_sub_f32_e32 v92, v92, v2
	s_delay_alu instid0(VALU_DEP_3)
	v_dual_add_f32 v2, v108, v2 :: v_dual_add_f32 v133, v97, v65
	v_mul_f32_e32 v0, 0x3f4a47b2, v0
	v_mul_f32_e32 v98, 0xbf08b237, v111
	v_dual_mul_f32 v108, 0xbf5ff5aa, v93 :: v_dual_mov_b32 v111, v132
	v_add_f32_e32 v7, v109, v7
	v_mul_f32_e32 v1, 0x3f4a47b2, v1
	v_dual_mul_f32 v64, 0x3d64c772, v88 :: v_dual_mul_f32 v65, 0x3d64c772, v89
	v_mul_f32_e32 v99, 0xbf08b237, v113
	v_mul_f32_e32 v109, 0xbf5ff5aa, v92
	v_dual_fmac_f32 v111, 0xbf955555, v96 :: v_dual_mov_b32 v96, v133
	v_fmamk_f32 v88, v88, 0x3d64c772, v0
	v_fma_f32 v0, 0xbf3bfb3b, v104, -v0
	v_fmac_f32_e32 v108, 0xbeae86e6, v81
	v_fmamk_f32 v89, v89, 0x3d64c772, v1
	v_fmac_f32_e32 v96, 0xbf955555, v97
	v_fma_f32 v64, 0x3f3bfb3b, v104, -v64
	v_fma_f32 v65, 0x3f3bfb3b, v105, -v65
	;; [unrolled: 1-line block ×3, first 2 shown]
	v_dual_fmamk_f32 v97, v80, 0x3eae86e6, v98 :: v_dual_fmamk_f32 v104, v81, 0x3eae86e6, v99
	v_fma_f32 v92, 0x3f5ff5aa, v92, -v98
	v_dual_fmac_f32 v109, 0xbeae86e6, v80 :: v_dual_add_f32 v0, v0, v111
	v_fmac_f32_e32 v108, 0x3ee1c552, v7
	v_fma_f32 v93, 0x3f5ff5aa, v93, -v99
	v_dual_add_f32 v88, v88, v111 :: v_dual_add_f32 v65, v65, v96
	v_add_f32_e32 v1, v1, v96
	v_dual_fmac_f32 v97, 0x3ee1c552, v2 :: v_dual_fmac_f32 v104, 0x3ee1c552, v7
	v_fmac_f32_e32 v92, 0x3ee1c552, v2
	v_dual_fmac_f32 v109, 0x3ee1c552, v2 :: v_dual_add_f32 v128, v108, v0
	v_sub_f32_e32 v108, v0, v108
	v_add_f32_e32 v0, v82, v138
	v_sub_f32_e32 v2, v82, v138
	v_add_f32_e32 v82, v84, v136
	v_dual_add_f32 v89, v89, v96 :: v_dual_add_f32 v64, v64, v111
	v_dual_fmac_f32 v93, 0x3ee1c552, v7 :: v_dual_add_f32 v80, v104, v88
	v_sub_f32_e32 v129, v1, v109
	v_add_f32_e32 v131, v92, v65
	v_sub_f32_e32 v65, v65, v92
	v_dual_add_f32 v109, v109, v1 :: v_dual_sub_f32 v92, v88, v104
	v_add_f32_e32 v1, v83, v139
	v_sub_f32_e32 v7, v83, v139
	v_dual_add_f32 v83, v85, v137 :: v_dual_add_f32 v88, v86, v134
	v_dual_add_f32 v96, v82, v0 :: v_dual_sub_f32 v81, v89, v97
	v_sub_f32_e32 v130, v64, v93
	v_add_f32_e32 v64, v93, v64
	v_dual_add_f32 v93, v97, v89 :: v_dual_sub_f32 v84, v84, v136
	v_dual_add_f32 v89, v87, v135 :: v_dual_sub_f32 v86, v134, v86
	;; [unrolled: 1-line block ×3, first 2 shown]
	v_sub_f32_e32 v0, v0, v88
	v_sub_f32_e32 v82, v88, v82
	v_dual_add_f32 v88, v88, v96 :: v_dual_sub_f32 v85, v85, v137
	v_sub_f32_e32 v87, v135, v87
	v_sub_f32_e32 v99, v83, v1
	;; [unrolled: 1-line block ×3, first 2 shown]
	v_dual_sub_f32 v83, v89, v83 :: v_dual_add_f32 v104, v86, v84
	v_sub_f32_e32 v111, v86, v84
	v_dual_sub_f32 v114, v2, v86 :: v_dual_add_f32 v89, v89, v97
	v_dual_add_f32 v86, v88, v3 :: v_dual_add_f32 v105, v87, v85
	v_sub_f32_e32 v113, v87, v85
	v_dual_sub_f32 v115, v7, v87 :: v_dual_sub_f32 v84, v84, v2
	s_delay_alu instid0(VALU_DEP_4) | instskip(NEXT) | instid1(VALU_DEP_4)
	v_dual_add_f32 v87, v89, v4 :: v_dual_mul_f32 v96, 0xbf08b237, v111
	v_mov_b32_e32 v111, v86
	v_dual_sub_f32 v85, v85, v7 :: v_dual_add_f32 v2, v104, v2
	v_mul_f32_e32 v0, 0x3f4a47b2, v0
	v_dual_mul_f32 v3, 0x3d64c772, v82 :: v_dual_mul_f32 v4, 0x3d64c772, v83
	v_mul_f32_e32 v97, 0xbf08b237, v113
	v_mul_f32_e32 v104, 0xbf5ff5aa, v84
	v_dual_fmac_f32 v111, 0xbf955555, v88 :: v_dual_mov_b32 v88, v87
	v_add_f32_e32 v7, v105, v7
	v_mul_f32_e32 v1, 0x3f4a47b2, v1
	v_fmamk_f32 v82, v82, 0x3d64c772, v0
	v_fma_f32 v3, 0x3f3bfb3b, v98, -v3
	v_fmac_f32_e32 v88, 0xbf955555, v89
	v_fma_f32 v4, 0x3f3bfb3b, v99, -v4
	v_fma_f32 v0, 0xbf3bfb3b, v98, -v0
	v_dual_fmamk_f32 v89, v114, 0x3eae86e6, v96 :: v_dual_fmamk_f32 v98, v115, 0x3eae86e6, v97
	v_fma_f32 v96, 0x3f5ff5aa, v84, -v96
	v_fma_f32 v97, 0x3f5ff5aa, v85, -v97
	v_fmac_f32_e32 v104, 0xbeae86e6, v114
	v_fmamk_f32 v83, v83, 0x3d64c772, v1
	v_dual_add_f32 v3, v3, v111 :: v_dual_add_f32 v4, v4, v88
	v_fmac_f32_e32 v89, 0x3ee1c552, v2
	v_dual_fmac_f32 v96, 0x3ee1c552, v2 :: v_dual_fmac_f32 v97, 0x3ee1c552, v7
	v_fmac_f32_e32 v104, 0x3ee1c552, v2
	v_dual_mul_f32 v105, 0xbf5ff5aa, v85 :: v_dual_lshlrev_b32 v2, 3, v175
	v_fma_f32 v1, 0xbf3bfb3b, v99, -v1
	v_add_f32_e32 v99, v82, v111
	v_add_f32_e32 v113, v83, v88
	v_dual_sub_f32 v84, v3, v97 :: v_dual_add_f32 v85, v96, v4
	v_dual_add_f32 v82, v97, v3 :: v_dual_sub_f32 v83, v4, v96
	ds_store_2addr_b64 v110, v[22:23], v[24:25] offset1:49
	ds_store_2addr_b64 v110, v[18:19], v[20:21] offset0:98 offset1:147
	ds_store_2addr_b64 v110, v[12:13], v[16:17] offset0:196 offset1:245
	v_add_nc_u32_e32 v4, 0x800, v110
	v_add_nc_u32_e32 v12, 0xc00, v110
	;; [unrolled: 1-line block ×4, first 2 shown]
	v_fmac_f32_e32 v105, 0xbeae86e6, v115
	v_add_f32_e32 v1, v1, v88
	ds_store_2addr_b64 v4, v[5:6], v[44:45] offset0:38 offset1:87
	ds_store_2addr_b64 v4, v[32:33], v[34:35] offset0:136 offset1:185
	;; [unrolled: 1-line block ×4, first 2 shown]
	s_clause 0x1
	scratch_store_b32 off, v3, off offset:436
	scratch_store_b32 off, v2, off offset:440
	ds_store_2addr_b64 v3, v[46:47], v[48:49] offset0:174 offset1:223
	v_dual_add_f32 v0, v0, v111 :: v_dual_add_nc_u32 v3, 0x1800, v2
	v_fmac_f32_e32 v98, 0x3ee1c552, v7
	v_fmac_f32_e32 v105, 0x3ee1c552, v7
	v_sub_f32_e32 v139, v113, v89
	ds_store_2addr_b64 v3, v[40:41], v[42:43] offset0:16 offset1:65
	scratch_store_b32 off, v3, off offset:492 ; 4-byte Folded Spill
	ds_store_2addr_b64 v3, v[8:9], v[36:37] offset0:114 offset1:163
	ds_store_b64 v2, v[38:39] offset:7840
	v_lshlrev_b32_e32 v2, 3, v174
	v_add_f32_e32 v138, v98, v99
	v_add_f32_e32 v136, v105, v0
	v_dual_sub_f32 v137, v1, v104 :: v_dual_sub_f32 v134, v0, v105
	s_delay_alu instid0(VALU_DEP_4)
	v_add_nc_u32_e32 v3, 0x2000, v2
	scratch_store_b32 off, v2, off offset:432 ; 4-byte Folded Spill
	v_dual_add_f32 v135, v104, v1 :: v_dual_sub_f32 v0, v99, v98
	v_add_f32_e32 v1, v89, v113
	ds_store_2addr_b64 v3, v[58:59], v[72:73] offset0:5 offset1:54
	scratch_store_b32 off, v3, off offset:500 ; 4-byte Folded Spill
	ds_store_2addr_b64 v3, v[54:55], v[56:57] offset0:103 offset1:152
	ds_store_2addr_b64 v3, v[10:11], v[50:51] offset0:201 offset1:250
	ds_store_b64 v2, v[52:53] offset:10584
	v_lshlrev_b32_e32 v2, 3, v112
	v_dual_mov_b32 v10, v4 :: v_dual_add_nc_u32 v9, 0x2800, v110
	v_add_nc_u32_e32 v8, 0x3000, v110
	v_add_nc_u32_e32 v11, 0x3400, v110
	s_delay_alu instid0(VALU_DEP_4)
	v_add_nc_u32_e32 v3, 0x2800, v2
	ds_store_2addr_b64 v3, v[100:101], v[102:103] offset0:92 offset1:141
	scratch_store_b32 off, v3, off offset:496 ; 4-byte Folded Spill
	ds_store_2addr_b64 v3, v[74:75], v[90:91] offset0:190 offset1:239
	v_add_nc_u32_e32 v3, 0x3000, v2
	s_clause 0x1
	scratch_store_b32 off, v2, off offset:404
	scratch_store_b32 off, v3, off offset:408
	ds_store_2addr_b64 v3, v[62:63], v[60:61] offset0:32 offset1:81
	ds_store_b64 v2, v[70:71] offset:13328
	v_and_b32_e32 v2, 0xffff, v95
	s_delay_alu instid0(VALU_DEP_1) | instskip(NEXT) | instid1(VALU_DEP_1)
	v_lshlrev_b32_e32 v2, 3, v2
	v_add_nc_u32_e32 v3, 0x3000, v2
	s_clause 0x1
	scratch_store_b32 off, v3, off offset:412
	scratch_store_b32 off, v2, off offset:416
	ds_store_2addr_b64 v3, v[132:133], v[80:81] offset0:179 offset1:228
	v_add_nc_u32_e32 v3, 0x3800, v2
	ds_store_2addr_b64 v3, v[128:129], v[130:131] offset0:21 offset1:70
	scratch_store_b32 off, v3, off offset:420 ; 4-byte Folded Spill
	ds_store_2addr_b64 v3, v[64:65], v[108:109] offset0:119 offset1:168
	ds_store_b64 v2, v[92:93] offset:16072
	v_and_b32_e32 v2, 0xffff, v94
	s_delay_alu instid0(VALU_DEP_1) | instskip(NEXT) | instid1(VALU_DEP_1)
	v_lshlrev_b32_e32 v2, 3, v2
	v_add_nc_u32_e32 v3, 0x4000, v2
	s_clause 0x1
	scratch_store_b32 off, v2, off offset:424
	scratch_store_b32 off, v3, off offset:428
	ds_store_2addr_b64 v3, v[86:87], v[138:139] offset0:10 offset1:59
	ds_store_2addr_b64 v3, v[136:137], v[84:85] offset0:108 offset1:157
	ds_store_2addr_b64 v3, v[82:83], v[134:135] offset0:206 offset1:255
	ds_store_b64 v2, v[0:1] offset:18816
	s_waitcnt lgkmcnt(0)
	s_waitcnt_vscnt null, 0x0
	s_barrier
	buffer_gl0_inv
	ds_load_2addr_b64 v[86:89], v110 offset1:49
	ds_load_2addr_b64 v[240:243], v4 offset0:38 offset1:87
	ds_load_2addr_b64 v[0:3], v13 offset0:174 offset1:223
	v_add_nc_u32_e32 v4, 0x1c00, v110
	ds_load_2addr_b64 v[54:57], v9 offset0:92 offset1:141
	ds_load_2addr_b64 v[16:19], v4 offset0:84 offset1:133
	;; [unrolled: 1-line block ×5, first 2 shown]
	v_add_nc_u32_e32 v10, 0x2000, v110
	ds_load_2addr_b64 v[71:74], v10 offset0:54 offset1:103
	ds_load_2addr_b64 v[128:131], v11 offset0:100 offset1:149
	ds_load_2addr_b64 v[248:251], v110 offset0:98 offset1:147
	v_add_nc_u32_e32 v11, 0x1800, v110
	ds_load_2addr_b64 v[132:135], v11 offset0:16 offset1:65
	ds_load_2addr_b64 v[136:139], v9 offset0:190 offset1:239
	;; [unrolled: 1-line block ×5, first 2 shown]
	v_add_nc_u32_e32 v9, 0x3800, v110
	ds_load_2addr_b64 v[36:39], v9 offset0:70 offset1:119
	ds_load_2addr_b64 v[244:247], v110 offset0:196 offset1:245
	;; [unrolled: 1-line block ×6, first 2 shown]
	v_add_nc_u32_e32 v8, 0x2400, v110
	ds_load_2addr_b64 v[12:15], v8 offset0:122 offset1:171
	ds_load_2addr_b64 v[8:11], v9 offset0:168 offset1:217
	ds_load_b64 v[52:53], v110 offset:18816
	s_clause 0x2
	global_load_b128 v[94:97], v[106:107], off offset:2720
	global_load_b128 v[98:101], v[106:107], off offset:2704
	global_load_b128 v[90:93], v[106:107], off offset:2688
	s_waitcnt vmcnt(2) lgkmcnt(19)
	v_mul_f32_e32 v117, v6, v95
	s_waitcnt vmcnt(0) lgkmcnt(18)
	v_dual_mul_f32 v119, v58, v97 :: v_dual_mul_f32 v70, v243, v91
	v_mul_f32_e32 v115, v0, v93
	scratch_store_b128 off, v[90:93], off offset:444 ; 16-byte Folded Spill
	v_fmac_f32_e32 v117, v7, v94
	s_clause 0x1
	scratch_store_b128 off, v[98:101], off offset:460
	scratch_store_b128 off, v[94:97], off offset:476
	v_fma_f32 v80, v242, v90, -v70
	v_mul_f32_e32 v70, v1, v93
	v_fmac_f32_e32 v115, v1, v92
	v_mul_f32_e32 v93, v54, v101
	v_fmac_f32_e32 v119, v59, v96
	v_mul_f32_e32 v85, v18, v99
	v_fma_f32 v114, v0, v92, -v70
	v_mul_f32_e32 v0, v19, v99
	v_fmac_f32_e32 v93, v55, v100
	v_mul_f32_e32 v81, v242, v91
	v_fmac_f32_e32 v85, v19, v98
	s_delay_alu instid0(VALU_DEP_4) | instskip(SKIP_1) | instid1(VALU_DEP_4)
	v_fma_f32 v84, v18, v98, -v0
	v_mul_f32_e32 v0, v55, v101
	v_fmac_f32_e32 v81, v243, v90
	s_delay_alu instid0(VALU_DEP_2) | instskip(SKIP_1) | instid1(VALU_DEP_1)
	v_fma_f32 v92, v54, v100, -v0
	v_mul_f32_e32 v0, v7, v95
	v_fma_f32 v54, v6, v94, -v0
	v_mul_f32_e32 v0, v59, v97
	s_delay_alu instid0(VALU_DEP_1)
	v_fma_f32 v118, v58, v96, -v0
	scratch_load_b32 v0, off, off offset:504 ; 4-byte Folded Reload
	s_waitcnt vmcnt(0)
	v_mad_u64_u32 v[6:7], null, v0, 48, s[6:7]
	s_clause 0x2
	global_load_b128 v[106:109], v[6:7], off offset:2720
	global_load_b128 v[172:175], v[6:7], off offset:2704
	;; [unrolled: 1-line block ×3, first 2 shown]
	s_mul_hi_u32 s6, s0, 0xffffc138
	s_delay_alu instid0(SALU_CYCLE_1)
	s_sub_i32 s6, s6, s0
	s_waitcnt vmcnt(2)
	v_mul_f32_e32 v113, v60, v109
	s_waitcnt vmcnt(1)
	v_mul_f32_e32 v1, v56, v175
	s_waitcnt vmcnt(0) lgkmcnt(17)
	v_dual_mul_f32 v0, v63, v95 :: v_dual_mul_f32 v105, v2, v97
	scratch_store_b128 off, v[94:97], off offset:504 ; 16-byte Folded Spill
	v_dual_fmac_f32 v113, v61, v108 :: v_dual_mul_f32 v100, v62, v95
	v_fma_f32 v99, v62, v94, -v0
	v_mul_f32_e32 v0, v3, v97
	v_fmac_f32_e32 v105, v3, v96
	s_waitcnt lgkmcnt(16)
	v_mul_f32_e32 v97, v71, v173
	scratch_store_b128 off, v[172:175], off offset:520 ; 16-byte Folded Spill
	v_fmac_f32_e32 v1, v57, v174
	v_fma_f32 v104, v2, v96, -v0
	v_mul_f32_e32 v0, v72, v173
	v_dual_mul_f32 v2, v61, v109 :: v_dual_fmac_f32 v97, v72, v172
	v_fmac_f32_e32 v100, v63, v94
	s_delay_alu instid0(VALU_DEP_3) | instskip(SKIP_1) | instid1(VALU_DEP_1)
	v_fma_f32 v96, v71, v172, -v0
	v_mul_f32_e32 v0, v57, v175
	v_fma_f32 v58, v56, v174, -v0
	v_fma_f32 v56, v60, v108, -v2
	v_add_co_u32 v2, vcc_lo, 0x13b0, v6
	v_add_co_ci_u32_e32 v3, vcc_lo, 0, v7, vcc_lo
	v_add_co_u32 v61, vcc_lo, 0x1000, v6
	v_add_co_ci_u32_e32 v62, vcc_lo, 0, v7, vcc_lo
	s_waitcnt lgkmcnt(15)
	v_mul_f32_e32 v0, v129, v107
	v_add_co_u32 v63, vcc_lo, 0x1ce0, v6
	global_load_b128 v[252:255], v[61:62], off offset:944
	scratch_store_b128 off, v[106:109], off offset:584 ; 16-byte Folded Spill
	v_fma_f32 v111, v128, v106, -v0
	v_mul_f32_e32 v0, v128, v107
	s_delay_alu instid0(VALU_DEP_1)
	v_fmac_f32_e32 v0, v129, v106
	s_waitcnt vmcnt(0)
	scratch_store_b128 off, v[252:255], off offset:604 ; 16-byte Folded Spill
	s_clause 0x1
	global_load_b128 v[172:175], v[2:3], off offset:32
	global_load_b128 v[180:183], v[2:3], off offset:16
	v_mul_f32_e32 v2, v65, v253
	v_mul_f32_e32 v109, v64, v253
	s_waitcnt lgkmcnt(13)
	v_mul_f32_e32 v18, v132, v255
	s_delay_alu instid0(VALU_DEP_3) | instskip(SKIP_4) | instid1(VALU_DEP_3)
	v_fma_f32 v108, v64, v252, -v2
	v_add_co_ci_u32_e32 v64, vcc_lo, 0, v7, vcc_lo
	v_mul_f32_e32 v2, v133, v255
	v_fmac_f32_e32 v109, v65, v252
	v_fmac_f32_e32 v18, v133, v254
	v_fma_f32 v72, v132, v254, -v2
	s_waitcnt vmcnt(1)
	v_mul_f32_e32 v19, v131, v173
	v_mul_f32_e32 v102, v130, v173
	s_waitcnt vmcnt(0)
	s_clause 0x1
	scratch_store_b128 off, v[180:183], off offset:620
	scratch_store_b128 off, v[172:175], off offset:636
	v_mul_f32_e32 v3, v73, v181
	v_fma_f32 v101, v130, v172, -v19
	s_waitcnt lgkmcnt(11)
	v_dual_mul_f32 v19, v49, v175 :: v_dual_fmac_f32 v102, v131, v172
	v_mul_f32_e32 v2, v74, v181
	v_fmac_f32_e32 v3, v74, v180
	s_delay_alu instid0(VALU_DEP_3) | instskip(SKIP_1) | instid1(VALU_DEP_4)
	v_fma_f32 v103, v48, v174, -v19
	v_mul_f32_e32 v48, v48, v175
	v_fma_f32 v70, v73, v180, -v2
	v_mul_f32_e32 v2, v137, v183
	s_delay_alu instid0(VALU_DEP_3)
	v_fmac_f32_e32 v48, v49, v174
	s_clause 0x2
	global_load_b128 v[172:175], v[61:62], off offset:3296
	global_load_b128 v[128:131], v[63:64], off offset:32
	;; [unrolled: 1-line block ×3, first 2 shown]
	v_fma_f32 v60, v136, v182, -v2
	v_mul_f32_e32 v2, v136, v183
	s_delay_alu instid0(VALU_DEP_1)
	v_fmac_f32_e32 v2, v137, v182
	s_waitcnt vmcnt(2) lgkmcnt(10)
	v_mul_f32_e32 v19, v45, v173
	scratch_store_b128 off, v[172:175], off offset:712 ; 16-byte Folded Spill
	s_waitcnt vmcnt(0)
	v_mul_f32_e32 v253, v138, v64
	s_clause 0x1
	scratch_store_b128 off, v[61:64], off offset:752
	scratch_store_b128 off, v[128:131], off offset:768
	v_fma_f32 v82, v44, v172, -v19
	v_dual_mul_f32 v44, v44, v173 :: v_dual_mul_f32 v19, v135, v175
	s_delay_alu instid0(VALU_DEP_1) | instskip(SKIP_2) | instid1(VALU_DEP_3)
	v_dual_fmac_f32 v253, v139, v63 :: v_dual_fmac_f32 v44, v45, v172
	s_waitcnt lgkmcnt(9)
	v_mul_f32_e32 v45, v41, v62
	v_fma_f32 v73, v134, v174, -v19
	v_mul_f32_e32 v19, v134, v175
	s_delay_alu instid0(VALU_DEP_3) | instskip(SKIP_1) | instid1(VALU_DEP_1)
	v_fma_f32 v74, v40, v61, -v45
	v_mul_f32_e32 v40, v40, v62
	v_dual_fmac_f32 v19, v135, v174 :: v_dual_fmac_f32 v40, v41, v61
	v_mul_f32_e32 v41, v139, v64
	v_add_co_u32 v61, vcc_lo, 0x2610, v6
	v_add_co_ci_u32_e32 v62, vcc_lo, 0, v7, vcc_lo
	s_delay_alu instid0(VALU_DEP_3) | instskip(SKIP_4) | instid1(VALU_DEP_3)
	v_fma_f32 v45, v138, v63, -v41
	s_waitcnt lgkmcnt(8)
	v_mul_f32_e32 v41, v37, v129
	v_add_co_u32 v63, vcc_lo, 0x2000, v6
	v_add_co_ci_u32_e32 v64, vcc_lo, 0, v7, vcc_lo
	v_fma_f32 v41, v36, v128, -v41
	v_mul_f32_e32 v36, v36, v129
	s_delay_alu instid0(VALU_DEP_1) | instskip(NEXT) | instid1(VALU_DEP_1)
	v_dual_fmac_f32 v36, v37, v128 :: v_dual_mul_f32 v37, v51, v131
	v_fma_f32 v252, v50, v130, -v37
	v_mul_f32_e32 v50, v50, v131
	s_delay_alu instid0(VALU_DEP_1)
	v_fmac_f32_e32 v50, v51, v130
	s_clause 0x2
	global_load_b128 v[136:139], v[63:64], off offset:1552
	global_load_b128 v[128:131], v[61:62], off offset:32
	;; [unrolled: 1-line block ×3, first 2 shown]
	s_waitcnt vmcnt(2)
	v_mul_f32_e32 v37, v47, v137
	s_waitcnt lgkmcnt(6)
	v_mul_f32_e32 v57, v32, v139
	s_waitcnt vmcnt(0) lgkmcnt(5)
	v_mul_f32_e32 v255, v28, v135
	s_waitcnt lgkmcnt(4)
	v_dual_mul_f32 v94, v24, v131 :: v_dual_mul_f32 v61, v46, v137
	v_fma_f32 v90, v46, v136, -v37
	v_mul_f32_e32 v37, v33, v139
	v_mul_f32_e32 v71, v42, v133
	;; [unrolled: 1-line block ×3, first 2 shown]
	v_fmac_f32_e32 v94, v25, v130
	scratch_store_b128 off, v[136:139], off offset:784 ; 16-byte Folded Spill
	v_fma_f32 v116, v32, v138, -v37
	v_mul_f32_e32 v32, v43, v133
	s_clause 0x1
	scratch_store_b128 off, v[132:135], off offset:816
	scratch_store_b128 off, v[128:131], off offset:852
	v_fmac_f32_e32 v61, v47, v136
	v_fmac_f32_e32 v57, v33, v138
	v_fma_f32 v112, v42, v132, -v32
	v_dual_mul_f32 v32, v29, v135 :: v_dual_fmac_f32 v71, v43, v132
	v_dual_fmac_f32 v255, v29, v134 :: v_dual_fmac_f32 v106, v39, v128
	s_delay_alu instid0(VALU_DEP_2) | instskip(SKIP_1) | instid1(VALU_DEP_1)
	v_fma_f32 v254, v28, v134, -v32
	v_mul_f32_e32 v28, v39, v129
	v_fma_f32 v37, v38, v128, -v28
	v_mul_f32_e32 v28, v25, v131
	s_delay_alu instid0(VALU_DEP_1)
	v_fma_f32 v107, v24, v130, -v28
	v_add_co_u32 v24, vcc_lo, 0x2f40, v6
	v_add_co_ci_u32_e32 v25, vcc_lo, 0, v7, vcc_lo
	s_clause 0x2
	global_load_b128 v[136:139], v[63:64], off offset:3904
	global_load_b128 v[128:131], v[24:25], off offset:32
	;; [unrolled: 1-line block ×3, first 2 shown]
	s_waitcnt vmcnt(2) lgkmcnt(3)
	v_mul_f32_e32 v24, v21, v137
	v_mul_f32_e32 v55, v20, v137
	s_waitcnt vmcnt(0) lgkmcnt(2)
	v_dual_mul_f32 v59, v12, v133 :: v_dual_mul_f32 v98, v30, v135
	s_waitcnt lgkmcnt(1)
	v_mul_f32_e32 v242, v8, v129
	v_fma_f32 v24, v20, v136, -v24
	s_delay_alu instid0(VALU_DEP_3) | instskip(SKIP_2) | instid1(VALU_DEP_3)
	v_dual_mul_f32 v20, v35, v139 :: v_dual_fmac_f32 v59, v13, v132
	v_dual_fmac_f32 v98, v31, v134 :: v_dual_fmac_f32 v55, v21, v136
	v_mul_f32_e32 v75, v34, v139
	v_fma_f32 v20, v34, v138, -v20
	v_fmac_f32_e32 v242, v9, v128
	v_sub_f32_e32 v21, v92, v84
	s_delay_alu instid0(VALU_DEP_4) | instskip(SKIP_2) | instid1(VALU_DEP_1)
	v_fmac_f32_e32 v75, v35, v138
	scratch_store_b32 off, v20, off offset:1000 ; 4-byte Folded Spill
	v_mul_f32_e32 v20, v13, v133
	v_fma_f32 v20, v12, v132, -v20
	v_mul_f32_e32 v12, v31, v135
	s_clause 0x1
	scratch_store_b32 off, v24, off offset:992
	scratch_store_b32 off, v20, off offset:996
	v_fma_f32 v12, v30, v134, -v12
	v_add_f32_e32 v20, v85, v93
	scratch_store_b32 off, v12, off offset:1004 ; 4-byte Folded Spill
	v_mul_f32_e32 v12, v9, v129
	v_add_f32_e32 v9, v81, v119
	s_delay_alu instid0(VALU_DEP_2)
	v_fma_f32 v12, v8, v128, -v12
	v_mul_f32_e32 v8, v27, v131
	scratch_store_b32 off, v12, off offset:1008 ; 4-byte Folded Spill
	v_add_co_u32 v12, vcc_lo, 0x3870, v6
	v_add_co_ci_u32_e32 v13, vcc_lo, 0, v7, vcc_lo
	v_add_co_u32 v6, vcc_lo, 0x3000, v6
	v_add_co_ci_u32_e32 v7, vcc_lo, 0, v7, vcc_lo
	s_clause 0x2
	global_load_b128 v[180:183], v[6:7], off offset:2160
	global_load_b128 v[28:31], v[12:13], off offset:32
	;; [unrolled: 1-line block ×3, first 2 shown]
	v_fma_f32 v243, v26, v130, -v8
	v_dual_mul_f32 v8, v26, v131 :: v_dual_add_f32 v7, v80, v118
	v_dual_add_f32 v12, v114, v54 :: v_dual_add_f32 v13, v115, v117
	s_delay_alu instid0(VALU_DEP_1) | instskip(NEXT) | instid1(VALU_DEP_2)
	v_dual_fmac_f32 v8, v27, v130 :: v_dual_sub_f32 v25, v12, v7
	v_add_f32_e32 v24, v13, v9
	s_waitcnt vmcnt(2)
	v_mul_f32_e32 v6, v23, v181
	v_dual_mul_f32 v83, v22, v181 :: v_dual_mul_f32 v26, v16, v183
	s_waitcnt vmcnt(0)
	v_mul_f32_e32 v91, v14, v173
	v_mul_f32_e32 v95, v10, v29
	v_fma_f32 v6, v22, v180, -v6
	v_dual_fmac_f32 v83, v23, v180 :: v_dual_fmac_f32 v26, v17, v182
	s_delay_alu instid0(VALU_DEP_4)
	v_fmac_f32_e32 v91, v15, v172
	v_add_f32_e32 v23, v12, v7
	scratch_store_b32 off, v6, off offset:980 ; 4-byte Folded Spill
	v_dual_mul_f32 v6, v17, v183 :: v_dual_add_f32 v17, v84, v92
	scratch_store_b128 off, v[28:31], off offset:940 ; 16-byte Folded Spill
	v_dual_fmac_f32 v95, v11, v28 :: v_dual_sub_f32 v22, v93, v85
	v_fma_f32 v6, v16, v182, -v6
	v_sub_f32_e32 v16, v115, v117
	v_dual_sub_f32 v7, v7, v17 :: v_dual_sub_f32 v12, v17, v12
	v_add_f32_e32 v17, v17, v23
	scratch_store_b32 off, v6, off offset:984 ; 4-byte Folded Spill
	v_mul_f32_e32 v6, v15, v173
	v_dual_sub_f32 v32, v22, v16 :: v_dual_mul_f32 v7, 0x3f4a47b2, v7
	s_delay_alu instid0(VALU_DEP_2) | instskip(SKIP_1) | instid1(VALU_DEP_3)
	v_fma_f32 v6, v14, v172, -v6
	v_sub_f32_e32 v14, v114, v54
	v_mul_f32_e32 v32, 0xbf08b237, v32
	scratch_store_b32 off, v6, off offset:988 ; 4-byte Folded Spill
	v_mul_f32_e32 v6, v5, v175
	s_delay_alu instid0(VALU_DEP_1) | instskip(SKIP_4) | instid1(VALU_DEP_4)
	v_fma_f32 v27, v4, v174, -v6
	v_mul_f32_e32 v6, v4, v175
	v_dual_mul_f32 v4, v11, v29 :: v_dual_sub_f32 v11, v81, v119
	v_sub_f32_e32 v29, v9, v20
	v_add_nc_u32_e32 v119, 0x2400, v110
	v_fmac_f32_e32 v6, v5, v174
	s_delay_alu instid0(VALU_DEP_4)
	v_fma_f32 v15, v10, v28, -v4
	s_waitcnt lgkmcnt(0)
	v_mul_f32_e32 v4, v53, v31
	v_sub_f32_e32 v10, v80, v118
	v_sub_f32_e32 v28, v13, v9
	v_add_f32_e32 v9, v21, v14
	v_sub_f32_e32 v13, v20, v13
	v_fma_f32 v5, v52, v30, -v4
	v_mul_f32_e32 v4, v52, v31
	s_delay_alu instid0(VALU_DEP_4) | instskip(SKIP_2) | instid1(VALU_DEP_4)
	v_dual_add_f32 v20, v20, v24 :: v_dual_add_f32 v23, v9, v10
	v_add_f32_e32 v9, v17, v86
	v_sub_f32_e32 v31, v21, v14
	v_fmac_f32_e32 v4, v53, v30
	v_add_f32_e32 v30, v22, v16
	v_dual_sub_f32 v16, v16, v11 :: v_dual_sub_f32 v21, v10, v21
	v_sub_f32_e32 v22, v11, v22
	v_sub_f32_e32 v14, v14, v10
	v_add_f32_e32 v10, v20, v87
	s_delay_alu instid0(VALU_DEP_4)
	v_dual_mul_f32 v34, 0xbf5ff5aa, v16 :: v_dual_mov_b32 v35, v9
	v_dual_add_f32 v11, v30, v11 :: v_dual_mul_f32 v24, 0x3f4a47b2, v29
	v_dual_mul_f32 v29, 0x3d64c772, v12 :: v_dual_mul_f32 v30, 0x3d64c772, v13
	v_mul_f32_e32 v31, 0xbf08b237, v31
	v_mul_f32_e32 v33, 0xbf5ff5aa, v14
	v_fmac_f32_e32 v35, 0xbf955555, v17
	v_dual_mov_b32 v17, v10 :: v_dual_fmamk_f32 v12, v12, 0x3d64c772, v7
	v_fma_f32 v7, 0xbf3bfb3b, v25, -v7
	v_fmac_f32_e32 v34, 0xbeae86e6, v22
	v_fmamk_f32 v13, v13, 0x3d64c772, v24
	s_delay_alu instid0(VALU_DEP_4)
	v_fmac_f32_e32 v17, 0xbf955555, v20
	v_fma_f32 v20, 0x3f3bfb3b, v25, -v29
	v_fma_f32 v29, 0x3f3bfb3b, v28, -v30
	v_fma_f32 v24, 0xbf3bfb3b, v28, -v24
	v_dual_fmamk_f32 v25, v21, 0x3eae86e6, v31 :: v_dual_fmamk_f32 v28, v22, 0x3eae86e6, v32
	v_fma_f32 v30, 0x3f5ff5aa, v14, -v31
	v_fma_f32 v31, 0x3f5ff5aa, v16, -v32
	v_fmac_f32_e32 v33, 0xbeae86e6, v21
	v_add_f32_e32 v7, v7, v35
	v_fmac_f32_e32 v34, 0x3ee1c552, v11
	v_add_f32_e32 v12, v12, v35
	v_add_f32_e32 v22, v13, v17
	;; [unrolled: 1-line block ×3, first 2 shown]
	v_dual_add_f32 v24, v24, v17 :: v_dual_fmac_f32 v25, 0x3ee1c552, v23
	v_fmac_f32_e32 v28, 0x3ee1c552, v11
	v_fmac_f32_e32 v30, 0x3ee1c552, v23
	;; [unrolled: 1-line block ×4, first 2 shown]
	v_dual_add_f32 v13, v34, v7 :: v_dual_sub_f32 v84, v7, v34
	v_add_f32_e32 v7, v99, v56
	v_add_f32_e32 v23, v104, v111
	v_dual_add_f32 v29, v29, v17 :: v_dual_add_f32 v20, v28, v12
	v_sub_f32_e32 v14, v24, v33
	v_sub_f32_e32 v16, v32, v31
	v_add_f32_e32 v80, v31, v32
	v_add_f32_e32 v85, v33, v24
	v_sub_f32_e32 v92, v12, v28
	v_dual_add_f32 v11, v100, v113 :: v_dual_add_f32 v24, v105, v0
	v_dual_add_f32 v28, v96, v58 :: v_dual_add_f32 v31, v23, v7
	v_add_f32_e32 v17, v30, v29
	v_sub_f32_e32 v81, v29, v30
	s_delay_alu instid0(VALU_DEP_4)
	v_dual_add_f32 v29, v97, v1 :: v_dual_add_f32 v32, v24, v11
	v_sub_f32_e32 v33, v23, v7
	v_sub_f32_e32 v7, v7, v28
	;; [unrolled: 1-line block ×3, first 2 shown]
	v_add_f32_e32 v28, v28, v31
	v_sub_f32_e32 v0, v105, v0
	v_dual_sub_f32 v1, v1, v97 :: v_dual_sub_f32 v34, v24, v11
	v_dual_sub_f32 v11, v11, v29 :: v_dual_sub_f32 v24, v29, v24
	v_add_f32_e32 v29, v29, v32
	v_dual_add_f32 v42, v28, v88 :: v_dual_sub_f32 v21, v22, v25
	v_dual_add_f32 v93, v25, v22 :: v_dual_sub_f32 v12, v99, v56
	v_sub_f32_e32 v22, v100, v113
	v_dual_sub_f32 v25, v104, v111 :: v_dual_sub_f32 v30, v58, v96
	v_add_f32_e32 v38, v1, v0
	v_sub_f32_e32 v46, v1, v0
	v_add_f32_e32 v43, v29, v89
	v_mov_b32_e32 v47, v42
	v_add_f32_e32 v35, v30, v25
	v_sub_f32_e32 v39, v30, v25
	v_sub_f32_e32 v1, v22, v1
	v_dual_sub_f32 v25, v25, v12 :: v_dual_sub_f32 v0, v0, v22
	v_dual_add_f32 v22, v38, v22 :: v_dual_mul_f32 v31, 0x3d64c772, v23
	v_mul_f32_e32 v38, 0xbf08b237, v46
	v_dual_fmac_f32 v47, 0xbf955555, v28 :: v_dual_mov_b32 v28, v43
	v_sub_f32_e32 v30, v12, v30
	v_dual_add_f32 v12, v35, v12 :: v_dual_mul_f32 v7, 0x3f4a47b2, v7
	v_mul_f32_e32 v11, 0x3f4a47b2, v11
	v_mul_f32_e32 v32, 0x3d64c772, v24
	;; [unrolled: 1-line block ×3, first 2 shown]
	v_dual_mul_f32 v39, 0xbf5ff5aa, v25 :: v_dual_mul_f32 v46, 0xbf5ff5aa, v0
	v_fmac_f32_e32 v28, 0xbf955555, v29
	v_fma_f32 v29, 0x3f3bfb3b, v33, -v31
	v_fma_f32 v0, 0x3f5ff5aa, v0, -v38
	v_fmamk_f32 v23, v23, 0x3d64c772, v7
	v_fmamk_f32 v24, v24, 0x3d64c772, v11
	v_fma_f32 v31, 0x3f3bfb3b, v34, -v32
	v_fma_f32 v7, 0xbf3bfb3b, v33, -v7
	;; [unrolled: 1-line block ×3, first 2 shown]
	v_dual_fmamk_f32 v32, v30, 0x3eae86e6, v35 :: v_dual_fmamk_f32 v33, v1, 0x3eae86e6, v38
	v_fma_f32 v34, 0x3f5ff5aa, v25, -v35
	v_fmac_f32_e32 v39, 0xbeae86e6, v30
	v_dual_add_f32 v29, v29, v47 :: v_dual_fmac_f32 v0, 0x3ee1c552, v22
	v_dual_fmac_f32 v46, 0xbeae86e6, v1 :: v_dual_add_f32 v1, v23, v47
	v_add_f32_e32 v30, v24, v28
	v_add_f32_e32 v31, v31, v28
	v_dual_fmac_f32 v32, 0x3ee1c552, v12 :: v_dual_fmac_f32 v33, 0x3ee1c552, v22
	v_fmac_f32_e32 v34, 0x3ee1c552, v12
	v_fmac_f32_e32 v39, 0x3ee1c552, v12
	v_sub_f32_e32 v88, v29, v0
	v_add_f32_e32 v96, v0, v29
	v_add_f32_e32 v0, v108, v103
	v_dual_add_f32 v12, v72, v101 :: v_dual_add_f32 v7, v7, v47
	v_dual_add_f32 v11, v11, v28 :: v_dual_fmac_f32 v46, 0x3ee1c552, v22
	v_dual_add_f32 v24, v33, v1 :: v_dual_sub_f32 v25, v30, v32
	v_add_f32_e32 v89, v34, v31
	v_dual_sub_f32 v97, v31, v34 :: v_dual_sub_f32 v104, v1, v33
	v_add_f32_e32 v105, v32, v30
	v_dual_add_f32 v1, v109, v48 :: v_dual_add_f32 v28, v18, v102
	v_dual_sub_f32 v29, v72, v101 :: v_dual_add_f32 v30, v70, v60
	v_add_f32_e32 v31, v3, v2
	v_sub_f32_e32 v32, v60, v70
	v_dual_sub_f32 v2, v2, v3 :: v_dual_add_f32 v3, v12, v0
	v_dual_add_f32 v22, v46, v7 :: v_dual_sub_f32 v99, v7, v46
	v_dual_sub_f32 v7, v108, v103 :: v_dual_sub_f32 v18, v18, v102
	v_add_f32_e32 v33, v28, v1
	v_dual_sub_f32 v35, v28, v1 :: v_dual_sub_f32 v38, v31, v28
	v_dual_add_f32 v28, v32, v29 :: v_dual_add_f32 v3, v30, v3
	v_sub_f32_e32 v23, v11, v39
	v_dual_add_f32 v100, v39, v11 :: v_dual_sub_f32 v11, v109, v48
	v_sub_f32_e32 v34, v12, v0
	v_sub_f32_e32 v0, v0, v30
	;; [unrolled: 1-line block ×3, first 2 shown]
	v_dual_add_f32 v39, v2, v18 :: v_dual_sub_f32 v46, v32, v29
	v_dual_sub_f32 v47, v2, v18 :: v_dual_sub_f32 v32, v7, v32
	v_sub_f32_e32 v48, v29, v7
	v_dual_add_f32 v30, v31, v33 :: v_dual_add_f32 v7, v28, v7
	v_dual_add_f32 v28, v3, v248 :: v_dual_sub_f32 v1, v1, v31
	v_sub_f32_e32 v2, v11, v2
	v_sub_f32_e32 v18, v18, v11
	v_add_f32_e32 v11, v39, v11
	v_add_f32_e32 v29, v30, v249
	v_dual_mul_f32 v39, 0xbf08b237, v46 :: v_dual_mul_f32 v46, 0xbf08b237, v47
	v_dual_mov_b32 v47, v28 :: v_dual_mul_f32 v0, 0x3f4a47b2, v0
	v_mul_f32_e32 v1, 0x3f4a47b2, v1
	v_mul_f32_e32 v31, 0x3d64c772, v12
	;; [unrolled: 1-line block ×4, first 2 shown]
	v_fmac_f32_e32 v47, 0xbf955555, v3
	v_mov_b32_e32 v3, v29
	v_mul_f32_e32 v51, 0xbf5ff5aa, v48
	v_fmamk_f32 v12, v12, 0x3d64c772, v0
	v_fma_f32 v31, 0x3f3bfb3b, v34, -v31
	v_fma_f32 v33, 0x3f3bfb3b, v35, -v33
	v_fmac_f32_e32 v3, 0xbf955555, v30
	v_fmamk_f32 v30, v38, 0x3d64c772, v1
	v_fma_f32 v0, 0xbf3bfb3b, v34, -v0
	v_fma_f32 v38, 0x3f5ff5aa, v48, -v39
	v_fmac_f32_e32 v54, 0xbeae86e6, v2
	v_fma_f32 v1, 0xbf3bfb3b, v35, -v1
	v_dual_fmamk_f32 v34, v32, 0x3eae86e6, v39 :: v_dual_fmamk_f32 v35, v2, 0x3eae86e6, v46
	v_fma_f32 v18, 0x3f5ff5aa, v18, -v46
	v_dual_fmac_f32 v51, 0xbeae86e6, v32 :: v_dual_add_f32 v2, v12, v47
	v_add_f32_e32 v12, v30, v3
	v_add_f32_e32 v30, v31, v47
	;; [unrolled: 1-line block ×4, first 2 shown]
	v_fmac_f32_e32 v38, 0x3ee1c552, v7
	v_fmac_f32_e32 v54, 0x3ee1c552, v11
	v_add_f32_e32 v1, v1, v3
	v_fmac_f32_e32 v34, 0x3ee1c552, v7
	v_fmac_f32_e32 v18, 0x3ee1c552, v11
	s_delay_alu instid0(VALU_DEP_4)
	v_dual_fmac_f32 v51, 0x3ee1c552, v7 :: v_dual_add_f32 v48, v54, v0
	v_add_f32_e32 v47, v38, v31
	v_sub_f32_e32 v109, v31, v38
	v_sub_f32_e32 v38, v0, v54
	v_dual_add_f32 v0, v82, v252 :: v_dual_add_f32 v7, v73, v41
	v_fmac_f32_e32 v35, 0x3ee1c552, v11
	v_dual_sub_f32 v49, v1, v51 :: v_dual_sub_f32 v46, v30, v18
	v_dual_add_f32 v108, v18, v30 :: v_dual_add_f32 v39, v51, v1
	v_add_f32_e32 v1, v44, v50
	v_add_f32_e32 v11, v19, v36
	v_dual_sub_f32 v18, v19, v36 :: v_dual_add_f32 v19, v74, v45
	v_add_f32_e32 v33, v7, v0
	v_add_f32_e32 v52, v35, v2
	v_sub_f32_e32 v53, v12, v34
	v_sub_f32_e32 v101, v2, v35
	v_add_f32_e32 v102, v34, v12
	v_sub_f32_e32 v12, v73, v41
	v_dual_add_f32 v30, v40, v253 :: v_dual_sub_f32 v31, v45, v74
	v_add_f32_e32 v34, v11, v1
	v_dual_sub_f32 v35, v7, v0 :: v_dual_sub_f32 v0, v0, v19
	v_sub_f32_e32 v7, v19, v7
	v_dual_add_f32 v19, v19, v33 :: v_dual_sub_f32 v2, v82, v252
	v_dual_sub_f32 v3, v44, v50 :: v_dual_sub_f32 v32, v253, v40
	v_dual_sub_f32 v36, v11, v1 :: v_dual_sub_f32 v1, v1, v30
	v_dual_sub_f32 v11, v30, v11 :: v_dual_add_f32 v40, v31, v12
	v_sub_f32_e32 v44, v31, v12
	v_add_f32_e32 v30, v30, v34
	v_add_f32_e32 v250, v19, v250
	;; [unrolled: 1-line block ×3, first 2 shown]
	v_sub_f32_e32 v45, v32, v18
	v_dual_sub_f32 v31, v2, v31 :: v_dual_sub_f32 v12, v12, v2
	v_sub_f32_e32 v18, v18, v3
	v_dual_add_f32 v2, v40, v2 :: v_dual_add_f32 v251, v30, v251
	v_mul_f32_e32 v40, 0xbf08b237, v44
	v_mov_b32_e32 v44, v250
	v_dual_sub_f32 v32, v3, v32 :: v_dual_add_f32 v3, v41, v3
	v_mul_f32_e32 v0, 0x3f4a47b2, v0
	v_mul_f32_e32 v33, 0x3d64c772, v7
	;; [unrolled: 1-line block ×4, first 2 shown]
	v_dual_fmac_f32 v44, 0xbf955555, v19 :: v_dual_mov_b32 v19, v251
	v_mul_f32_e32 v1, 0x3f4a47b2, v1
	v_mul_f32_e32 v34, 0x3d64c772, v11
	;; [unrolled: 1-line block ×3, first 2 shown]
	v_fmamk_f32 v7, v7, 0x3d64c772, v0
	v_fmac_f32_e32 v19, 0xbf955555, v30
	v_fma_f32 v30, 0x3f3bfb3b, v35, -v33
	v_fma_f32 v0, 0xbf3bfb3b, v35, -v0
	v_fmamk_f32 v58, v32, 0x3eae86e6, v41
	v_fma_f32 v18, 0x3f5ff5aa, v18, -v41
	v_fmac_f32_e32 v56, 0xbeae86e6, v32
	v_fmamk_f32 v11, v11, 0x3d64c772, v1
	v_fma_f32 v33, 0x3f3bfb3b, v36, -v34
	v_fma_f32 v1, 0xbf3bfb3b, v36, -v1
	v_fmamk_f32 v36, v31, 0x3eae86e6, v40
	v_fma_f32 v12, 0x3f5ff5aa, v12, -v40
	v_dual_fmac_f32 v54, 0xbeae86e6, v31 :: v_dual_add_f32 v7, v7, v44
	v_add_f32_e32 v30, v30, v44
	v_add_f32_e32 v0, v0, v44
	v_fmac_f32_e32 v58, 0x3ee1c552, v3
	v_fmac_f32_e32 v18, 0x3ee1c552, v3
	;; [unrolled: 1-line block ×3, first 2 shown]
	v_add_f32_e32 v11, v11, v19
	v_add_f32_e32 v31, v33, v19
	v_dual_add_f32 v1, v1, v19 :: v_dual_fmac_f32 v36, 0x3ee1c552, v2
	v_fmac_f32_e32 v12, 0x3ee1c552, v2
	v_fmac_f32_e32 v54, 0x3ee1c552, v2
	v_add_f32_e32 v50, v58, v7
	v_add_f32_e32 v44, v56, v0
	v_sub_f32_e32 v34, v30, v18
	v_add_f32_e32 v32, v18, v30
	v_sub_f32_e32 v30, v0, v56
	v_sub_f32_e32 v18, v7, v58
	v_dual_add_f32 v0, v90, v107 :: v_dual_add_f32 v7, v116, v37
	v_sub_f32_e32 v51, v11, v36
	v_sub_f32_e32 v45, v1, v54
	v_add_f32_e32 v35, v12, v31
	v_sub_f32_e32 v33, v31, v12
	v_add_f32_e32 v31, v54, v1
	v_add_f32_e32 v19, v36, v11
	;; [unrolled: 1-line block ×3, first 2 shown]
	v_dual_add_f32 v11, v57, v106 :: v_dual_sub_f32 v12, v116, v37
	v_dual_add_f32 v37, v112, v254 :: v_dual_add_f32 v56, v7, v0
	v_sub_f32_e32 v36, v57, v106
	v_add_f32_e32 v40, v71, v255
	s_delay_alu instid0(VALU_DEP_4)
	v_add_f32_e32 v57, v11, v1
	v_sub_f32_e32 v58, v7, v0
	v_dual_sub_f32 v0, v0, v37 :: v_dual_sub_f32 v7, v37, v7
	v_add_f32_e32 v37, v37, v56
	v_dual_sub_f32 v41, v254, v112 :: v_dual_sub_f32 v54, v255, v71
	v_dual_sub_f32 v60, v11, v1 :: v_dual_sub_f32 v1, v1, v40
	v_sub_f32_e32 v11, v40, v11
	v_add_f32_e32 v40, v40, v57
	v_add_f32_e32 v56, v37, v244
	v_dual_sub_f32 v2, v90, v107 :: v_dual_sub_f32 v3, v61, v94
	v_add_f32_e32 v61, v41, v12
	s_delay_alu instid0(VALU_DEP_4) | instskip(NEXT) | instid1(VALU_DEP_4)
	v_dual_sub_f32 v64, v54, v36 :: v_dual_add_f32 v57, v40, v245
	v_dual_mov_b32 v71, v56 :: v_dual_add_f32 v62, v54, v36
	v_sub_f32_e32 v63, v41, v12
	v_dual_sub_f32 v41, v2, v41 :: v_dual_sub_f32 v12, v12, v2
	v_sub_f32_e32 v36, v36, v3
	v_dual_add_f32 v2, v61, v2 :: v_dual_mul_f32 v61, 0x3d64c772, v7
	v_mul_f32_e32 v64, 0xbf08b237, v64
	v_fmac_f32_e32 v71, 0xbf955555, v37
	v_dual_mov_b32 v37, v57 :: v_dual_sub_f32 v54, v3, v54
	v_dual_add_f32 v3, v62, v3 :: v_dual_mul_f32 v0, 0x3f4a47b2, v0
	v_mul_f32_e32 v1, 0x3f4a47b2, v1
	v_mul_f32_e32 v62, 0x3d64c772, v11
	;; [unrolled: 1-line block ×5, first 2 shown]
	v_fmac_f32_e32 v37, 0xbf955555, v40
	v_fma_f32 v40, 0x3f3bfb3b, v58, -v61
	v_fma_f32 v36, 0x3f5ff5aa, v36, -v64
	v_fmamk_f32 v7, v7, 0x3d64c772, v0
	v_fmamk_f32 v11, v11, 0x3d64c772, v1
	v_fma_f32 v61, 0x3f3bfb3b, v60, -v62
	v_fma_f32 v0, 0xbf3bfb3b, v58, -v0
	;; [unrolled: 1-line block ×3, first 2 shown]
	v_fmamk_f32 v58, v41, 0x3eae86e6, v63
	v_fma_f32 v62, 0x3f5ff5aa, v12, -v63
	v_dual_fmac_f32 v65, 0xbeae86e6, v41 :: v_dual_fmac_f32 v70, 0xbeae86e6, v54
	v_add_f32_e32 v40, v40, v71
	v_fmac_f32_e32 v36, 0x3ee1c552, v3
	v_dual_fmamk_f32 v60, v54, 0x3eae86e6, v64 :: v_dual_add_f32 v41, v11, v37
	v_add_f32_e32 v54, v61, v37
	v_dual_add_f32 v0, v0, v71 :: v_dual_add_f32 v1, v1, v37
	v_fmac_f32_e32 v58, 0x3ee1c552, v2
	v_fmac_f32_e32 v62, 0x3ee1c552, v2
	v_dual_fmac_f32 v65, 0x3ee1c552, v2 :: v_dual_fmac_f32 v70, 0x3ee1c552, v3
	v_sub_f32_e32 v254, v40, v36
	v_add_f32_e32 v248, v36, v40
	s_clause 0x2
	scratch_load_b32 v2, off, off offset:992
	scratch_load_b32 v36, off, off offset:1000
	;; [unrolled: 1-line block ×3, first 2 shown]
	v_add_f32_e32 v7, v7, v71
	v_dual_fmac_f32 v60, 0x3ee1c552, v3 :: v_dual_add_f32 v11, v70, v0
	v_dual_sub_f32 v12, v1, v65 :: v_dual_add_f32 v255, v62, v54
	v_sub_f32_e32 v249, v54, v62
	v_add_f32_e32 v71, v65, v1
	v_add_f32_e32 v1, v55, v8
	v_sub_f32_e32 v3, v55, v8
	s_clause 0x1
	scratch_load_b32 v54, off, off offset:996
	scratch_load_b32 v55, off, off offset:1004
	v_add_f32_e32 v244, v60, v7
	v_sub_f32_e32 v70, v0, v70
	v_dual_sub_f32 v60, v7, v60 :: v_dual_sub_f32 v245, v41, v58
	v_dual_add_f32 v61, v58, v41 :: v_dual_add_f32 v8, v75, v242
	v_add_f32_e32 v41, v59, v98
	v_add_nc_u32_e32 v107, 0x4000, v110
	s_delay_alu instid0(VALU_DEP_3) | instskip(SKIP_1) | instid1(VALU_DEP_3)
	v_sub_f32_e32 v63, v8, v1
	s_waitcnt vmcnt(4)
	v_dual_sub_f32 v65, v1, v41 :: v_dual_add_f32 v0, v2, v243
	s_waitcnt vmcnt(2)
	v_add_f32_e32 v7, v36, v37
	v_sub_f32_e32 v36, v36, v37
	v_dual_sub_f32 v2, v2, v243 :: v_dual_sub_f32 v37, v75, v242
	s_delay_alu instid0(VALU_DEP_3)
	v_add_f32_e32 v58, v7, v0
	v_sub_f32_e32 v62, v7, v0
	s_waitcnt vmcnt(0)
	v_add_f32_e32 v40, v54, v55
	v_dual_sub_f32 v54, v55, v54 :: v_dual_sub_f32 v55, v98, v59
	v_dual_add_f32 v59, v8, v1 :: v_dual_sub_f32 v8, v41, v8
	s_delay_alu instid0(VALU_DEP_3) | instskip(NEXT) | instid1(VALU_DEP_3)
	v_sub_f32_e32 v64, v0, v40
	v_dual_sub_f32 v7, v40, v7 :: v_dual_add_f32 v0, v54, v36
	s_delay_alu instid0(VALU_DEP_4)
	v_dual_add_f32 v40, v40, v58 :: v_dual_add_f32 v1, v55, v37
	v_sub_f32_e32 v72, v54, v36
	v_sub_f32_e32 v54, v2, v54
	v_dual_sub_f32 v36, v36, v2 :: v_dual_add_f32 v41, v41, v59
	v_add_f32_e32 v2, v0, v2
	v_dual_add_f32 v0, v40, v246 :: v_dual_sub_f32 v73, v55, v37
	v_sub_f32_e32 v55, v3, v55
	v_sub_f32_e32 v37, v37, v3
	v_add_f32_e32 v3, v1, v3
	s_delay_alu instid0(VALU_DEP_4)
	v_dual_add_f32 v1, v41, v247 :: v_dual_mov_b32 v74, v0
	v_dual_mul_f32 v58, 0x3f4a47b2, v64 :: v_dual_mul_f32 v59, 0x3f4a47b2, v65
	v_dual_mul_f32 v64, 0x3d64c772, v7 :: v_dual_mul_f32 v65, 0x3d64c772, v8
	v_mul_f32_e32 v72, 0xbf08b237, v72
	v_mul_f32_e32 v82, 0xbf5ff5aa, v36
	v_fmac_f32_e32 v74, 0xbf955555, v40
	v_dual_mov_b32 v40, v1 :: v_dual_mul_f32 v73, 0xbf08b237, v73
	v_mul_f32_e32 v86, 0xbf5ff5aa, v37
	v_fmamk_f32 v8, v8, 0x3d64c772, v59
	v_fma_f32 v59, 0xbf3bfb3b, v63, -v59
	s_delay_alu instid0(VALU_DEP_4)
	v_fmac_f32_e32 v40, 0xbf955555, v41
	v_fma_f32 v41, 0x3f3bfb3b, v62, -v64
	v_fma_f32 v64, 0x3f3bfb3b, v63, -v65
	;; [unrolled: 1-line block ×3, first 2 shown]
	v_fmac_f32_e32 v82, 0xbeae86e6, v54
	v_fmamk_f32 v7, v7, 0x3d64c772, v58
	v_fma_f32 v58, 0xbf3bfb3b, v62, -v58
	v_dual_fmamk_f32 v62, v54, 0x3eae86e6, v72 :: v_dual_fmamk_f32 v63, v55, 0x3eae86e6, v73
	v_dual_fmac_f32 v86, 0xbeae86e6, v55 :: v_dual_add_f32 v55, v8, v40
	v_add_f32_e32 v64, v64, v40
	v_add_f32_e32 v40, v59, v40
	v_fmac_f32_e32 v36, 0x3ee1c552, v2
	v_fmac_f32_e32 v82, 0x3ee1c552, v2
	;; [unrolled: 1-line block ×3, first 2 shown]
	v_fma_f32 v37, 0x3f5ff5aa, v37, -v73
	s_delay_alu instid0(VALU_DEP_4) | instskip(NEXT) | instid1(VALU_DEP_4)
	v_dual_add_f32 v41, v41, v74 :: v_dual_add_f32 v8, v36, v64
	v_sub_f32_e32 v247, v40, v82
	v_sub_f32_e32 v243, v64, v36
	v_add_f32_e32 v59, v82, v40
	s_clause 0x1
	scratch_load_b32 v36, off, off offset:980
	scratch_load_b32 v40, off, off offset:984
	v_sub_f32_e32 v75, v55, v62
	v_add_f32_e32 v55, v62, v55
	scratch_load_b32 v62, off, off offset:988 ; 4-byte Folded Reload
	v_dual_fmac_f32 v37, 0x3ee1c552, v3 :: v_dual_add_f32 v54, v7, v74
	v_fmac_f32_e32 v63, 0x3ee1c552, v3
	v_dual_fmac_f32 v86, 0x3ee1c552, v3 :: v_dual_add_f32 v3, v83, v4
	s_delay_alu instid0(VALU_DEP_3) | instskip(SKIP_4) | instid1(VALU_DEP_4)
	v_sub_f32_e32 v7, v41, v37
	v_dual_add_f32 v242, v37, v41 :: v_dual_add_f32 v37, v26, v95
	v_add_f32_e32 v58, v58, v74
	v_add_f32_e32 v74, v63, v54
	v_dual_sub_f32 v54, v54, v63 :: v_dual_add_f32 v41, v91, v6
	v_add_f32_e32 v63, v37, v3
	s_delay_alu instid0(VALU_DEP_4) | instskip(NEXT) | instid1(VALU_DEP_3)
	v_dual_sub_f32 v65, v37, v3 :: v_dual_add_f32 v246, v86, v58
	v_dual_sub_f32 v58, v58, v86 :: v_dual_sub_f32 v3, v3, v41
	v_sub_f32_e32 v37, v41, v37
	s_delay_alu instid0(VALU_DEP_4)
	v_add_f32_e32 v41, v41, v63
	v_sub_f32_e32 v26, v26, v95
	v_sub_f32_e32 v6, v6, v91
	v_mul_f32_e32 v3, 0x3f4a47b2, v3
	v_mul_f32_e32 v63, 0x3d64c772, v37
	v_dual_add_f32 v95, v41, v241 :: v_dual_sub_f32 v4, v83, v4
	s_delay_alu instid0(VALU_DEP_4)
	v_add_f32_e32 v73, v6, v26
	v_sub_f32_e32 v83, v6, v26
	v_fmamk_f32 v37, v37, 0x3d64c772, v3
	v_fma_f32 v3, 0xbf3bfb3b, v65, -v3
	v_sub_f32_e32 v6, v4, v6
	v_sub_f32_e32 v26, v26, v4
	v_dual_add_f32 v4, v73, v4 :: v_dual_mul_f32 v73, 0xbf08b237, v83
	s_delay_alu instid0(VALU_DEP_2) | instskip(NEXT) | instid1(VALU_DEP_2)
	v_mul_f32_e32 v83, 0xbf5ff5aa, v26
	v_fma_f32 v26, 0x3f5ff5aa, v26, -v73
	s_delay_alu instid0(VALU_DEP_2) | instskip(NEXT) | instid1(VALU_DEP_2)
	v_fmac_f32_e32 v83, 0xbeae86e6, v6
	v_fmac_f32_e32 v26, 0x3ee1c552, v4
	s_waitcnt vmcnt(2)
	s_delay_alu instid0(VALU_DEP_2)
	v_dual_fmac_f32 v83, 0x3ee1c552, v4 :: v_dual_add_f32 v2, v36, v5
	v_sub_f32_e32 v5, v36, v5
	s_waitcnt vmcnt(1)
	v_add_f32_e32 v36, v40, v15
	v_sub_f32_e32 v15, v40, v15
	s_waitcnt vmcnt(0)
	v_dual_add_f32 v40, v62, v27 :: v_dual_sub_f32 v27, v27, v62
	s_delay_alu instid0(VALU_DEP_3) | instskip(SKIP_1) | instid1(VALU_DEP_3)
	v_add_f32_e32 v62, v36, v2
	v_sub_f32_e32 v64, v36, v2
	v_sub_f32_e32 v2, v2, v40
	v_sub_f32_e32 v36, v40, v36
	v_add_f32_e32 v72, v27, v15
	v_add_f32_e32 v40, v40, v62
	v_sub_f32_e32 v82, v27, v15
	v_sub_f32_e32 v27, v5, v27
	;; [unrolled: 1-line block ×3, first 2 shown]
	v_add_f32_e32 v5, v72, v5
	v_add_f32_e32 v94, v40, v240
	v_mul_f32_e32 v62, 0x3d64c772, v36
	v_mul_f32_e32 v72, 0xbf08b237, v82
	;; [unrolled: 1-line block ×4, first 2 shown]
	v_mov_b32_e32 v86, v94
	s_delay_alu instid0(VALU_DEP_4) | instskip(NEXT) | instid1(VALU_DEP_4)
	v_fma_f32 v15, 0x3f5ff5aa, v15, -v72
	v_fmac_f32_e32 v82, 0xbeae86e6, v27
	s_delay_alu instid0(VALU_DEP_4) | instskip(NEXT) | instid1(VALU_DEP_4)
	v_fmamk_f32 v36, v36, 0x3d64c772, v2
	v_fmac_f32_e32 v86, 0xbf955555, v40
	s_delay_alu instid0(VALU_DEP_4) | instskip(SKIP_2) | instid1(VALU_DEP_3)
	v_dual_mov_b32 v40, v95 :: v_dual_fmac_f32 v15, 0x3ee1c552, v5
	v_fma_f32 v2, 0xbf3bfb3b, v64, -v2
	v_fmac_f32_e32 v82, 0x3ee1c552, v5
	v_fmac_f32_e32 v40, 0xbf955555, v41
	v_fma_f32 v41, 0x3f3bfb3b, v64, -v62
	v_fma_f32 v62, 0x3f3bfb3b, v65, -v63
	v_dual_fmamk_f32 v63, v27, 0x3eae86e6, v72 :: v_dual_fmamk_f32 v64, v6, 0x3eae86e6, v73
	s_delay_alu instid0(VALU_DEP_4) | instskip(NEXT) | instid1(VALU_DEP_3)
	v_dual_add_f32 v27, v37, v40 :: v_dual_add_f32 v6, v36, v86
	v_add_f32_e32 v37, v62, v40
	s_delay_alu instid0(VALU_DEP_3)
	v_fmac_f32_e32 v63, 0x3ee1c552, v5
	ds_store_b64 v110, v[20:21] offset:2744
	ds_store_b64 v110, v[13:14] offset:5488
	;; [unrolled: 1-line block ×6, first 2 shown]
	ds_store_2addr_b64 v110, v[9:10], v[42:43] offset1:49
	v_dual_add_f32 v40, v3, v40 :: v_dual_add_nc_u32 v9, 0x2000, v110
	v_add_f32_e32 v5, v15, v37
	v_sub_f32_e32 v241, v37, v15
	v_add_nc_u32_e32 v15, 0x800, v110
	v_fmac_f32_e32 v64, 0x3ee1c552, v4
	ds_store_2addr_b64 v9, v[88:89], v[46:47] offset0:54 offset1:103
	v_add_nc_u32_e32 v14, 0x2800, v110
	v_add_nc_u32_e32 v46, 0x3400, v110
	ds_store_2addr_b64 v15, v[24:25], v[52:53] offset0:136 offset1:185
	v_add_nc_u32_e32 v52, 0x1400, v110
	v_add_nc_u32_e32 v62, 0xc00, v110
	v_add_f32_e32 v36, v41, v86
	v_add_f32_e32 v41, v2, v86
	;; [unrolled: 1-line block ×3, first 2 shown]
	v_sub_f32_e32 v91, v40, v82
	v_add_f32_e32 v87, v82, v40
	v_sub_f32_e32 v82, v6, v64
	ds_store_2addr_b64 v52, v[22:23], v[48:49] offset0:95 offset1:144
	ds_store_2addr_b64 v14, v[96:97], v[108:109] offset0:141 offset1:190
	;; [unrolled: 1-line block ×3, first 2 shown]
	v_add_nc_u32_e32 v6, 0x1800, v110
	v_add_nc_u32_e32 v48, 0x2c00, v110
	;; [unrolled: 1-line block ×3, first 2 shown]
	ds_store_2addr_b64 v107, v[104:105], v[101:102] offset0:59 offset1:108
	ds_store_2addr_b64 v110, v[28:29], v[250:251] offset0:98 offset1:147
	;; [unrolled: 1-line block ×3, first 2 shown]
	v_add_nc_u32_e32 v51, 0x3800, v110
	v_sub_f32_e32 v3, v27, v63
	v_add_f32_e32 v90, v83, v41
	v_sub_f32_e32 v4, v36, v26
	v_add_f32_e32 v240, v26, v36
	;; [unrolled: 2-line block ×3, first 2 shown]
	ds_store_2addr_b64 v6, v[44:45], v[11:12] offset0:65 offset1:114
	ds_store_2addr_b64 v9, v[34:35], v[254:255] offset0:152 offset1:201
	;; [unrolled: 1-line block ×6, first 2 shown]
	ds_store_b64 v110, v[94:95] offset:2352
	v_add_nc_u32_e32 v57, 0x1000, v110
	v_add_nc_u32_e32 v50, 0x4400, v110
	ds_store_2addr_b64 v57, v[74:75], v[2:3] offset0:76 offset1:125
	ds_store_2addr_b64 v6, v[246:247], v[90:91] offset0:163 offset1:212
	;; [unrolled: 1-line block ×6, first 2 shown]
	s_waitcnt lgkmcnt(0)
	s_waitcnt_vscnt null, 0x0
	s_barrier
	buffer_gl0_inv
	s_clause 0x2
	scratch_load_b32 v53, off, off offset:928
	scratch_load_b32 v54, off, off offset:936
	scratch_load_b64 v[0:1], off, off offset:972
	ds_load_2addr_b64 v[10:13], v110 offset1:49
	v_mov_b32_e32 v45, v9
	v_dual_mov_b32 v60, v6 :: v_dual_add_nc_u32 v49, 0x1c00, v110
	v_mov_b32_e32 v56, v14
	v_mov_b32_e32 v104, v15
	s_delay_alu instid0(VALU_DEP_4) | instskip(NEXT) | instid1(VALU_DEP_4)
	v_mov_b32_e32 v112, v45
	v_dual_mov_b32 v114, v57 :: v_dual_mov_b32 v113, v60
	s_delay_alu instid0(VALU_DEP_4)
	v_mov_b32_e32 v111, v56
	v_mov_b32_e32 v115, v51
	s_waitcnt vmcnt(2)
	v_add_co_u32 v20, vcc_lo, 0x4b08, v53
	s_waitcnt vmcnt(0)
	global_load_b64 v[0:1], v[0:1], off offset:2824
	v_add_co_ci_u32_e32 v21, vcc_lo, 0, v54, vcc_lo
	v_add_co_u32 v18, vcc_lo, 0x6000, v53
	v_add_co_ci_u32_e32 v19, vcc_lo, 0, v54, vcc_lo
	s_waitcnt vmcnt(0) lgkmcnt(0)
	v_mul_f32_e32 v2, v11, v1
	v_mul_f32_e32 v3, v10, v1
	s_delay_alu instid0(VALU_DEP_2) | instskip(NEXT) | instid1(VALU_DEP_2)
	v_fma_f32 v2, v10, v0, -v2
	v_fmac_f32_e32 v3, v11, v0
	global_load_b64 v[0:1], v[20:21], off offset:2744
	ds_store_b64 v110, v[2:3]
	ds_load_2addr_b64 v[8:11], v15 offset0:38 offset1:87
	ds_load_2addr_b64 v[23:26], v57 offset0:174 offset1:223
	;; [unrolled: 1-line block ×4, first 2 shown]
	v_add_co_u32 v14, vcc_lo, 0x7000, v53
	v_add_co_ci_u32_e32 v15, vcc_lo, 0, v54, vcc_lo
	ds_load_2addr_b64 v[31:34], v107 offset0:10 offset1:59
	s_waitcnt vmcnt(0) lgkmcnt(4)
	v_mul_f32_e32 v2, v11, v1
	v_mul_f32_e32 v36, v10, v1
	s_delay_alu instid0(VALU_DEP_2) | instskip(NEXT) | instid1(VALU_DEP_2)
	v_fma_f32 v35, v10, v0, -v2
	v_fmac_f32_e32 v36, v11, v0
	global_load_b64 v[0:1], v[18:19], off offset:120
	s_waitcnt vmcnt(0) lgkmcnt(3)
	v_mul_f32_e32 v2, v24, v1
	s_delay_alu instid0(VALU_DEP_1) | instskip(SKIP_1) | instid1(VALU_DEP_1)
	v_fma_f32 v22, v23, v0, -v2
	v_mul_f32_e32 v23, v23, v1
	v_fmac_f32_e32 v23, v24, v0
	global_load_b64 v[0:1], v[18:19], off offset:2864
	s_waitcnt vmcnt(0) lgkmcnt(2)
	v_mul_f32_e32 v2, v7, v1
	v_mul_f32_e32 v38, v6, v1
	s_delay_alu instid0(VALU_DEP_2) | instskip(NEXT) | instid1(VALU_DEP_2)
	v_fma_f32 v37, v6, v0, -v2
	v_fmac_f32_e32 v38, v7, v0
	global_load_b64 v[0:1], v[14:15], off offset:1512
	v_add_co_u32 v6, vcc_lo, 0x8000, v53
	v_add_co_ci_u32_e32 v7, vcc_lo, 0, v54, vcc_lo
	global_load_b64 v[10:11], v[6:7], off offset:160
	s_waitcnt vmcnt(1) lgkmcnt(1)
	v_mul_f32_e32 v2, v28, v1
	v_mul_f32_e32 v17, v27, v1
	s_delay_alu instid0(VALU_DEP_2) | instskip(NEXT) | instid1(VALU_DEP_2)
	v_fma_f32 v16, v27, v0, -v2
	v_fmac_f32_e32 v17, v28, v0
	ds_load_2addr_b64 v[0:3], v109 offset0:130 offset1:179
	global_load_b64 v[27:28], v[20:21], off offset:3136
	s_waitcnt vmcnt(1) lgkmcnt(0)
	v_mul_f32_e32 v24, v3, v11
	v_mul_f32_e32 v40, v2, v11
	s_delay_alu instid0(VALU_DEP_2) | instskip(NEXT) | instid1(VALU_DEP_2)
	v_fma_f32 v39, v2, v10, -v24
	v_fmac_f32_e32 v40, v3, v10
	global_load_b64 v[10:11], v[6:7], off offset:2904
	s_waitcnt vmcnt(0)
	v_mul_f32_e32 v2, v32, v11
	v_mul_f32_e32 v3, v31, v11
	s_delay_alu instid0(VALU_DEP_2) | instskip(NEXT) | instid1(VALU_DEP_2)
	v_fma_f32 v2, v31, v10, -v2
	v_fmac_f32_e32 v3, v32, v10
	global_load_b64 v[10:11], v[20:21], off offset:392
	s_waitcnt vmcnt(0)
	v_mul_f32_e32 v24, v13, v11
	v_mul_f32_e32 v42, v12, v11
	s_delay_alu instid0(VALU_DEP_2) | instskip(NEXT) | instid1(VALU_DEP_2)
	v_fma_f32 v41, v12, v10, -v24
	v_fmac_f32_e32 v42, v13, v10
	ds_load_2addr_b64 v[10:13], v104 offset0:136 offset1:185
	s_waitcnt lgkmcnt(0)
	v_mul_f32_e32 v24, v11, v28
	v_mul_f32_e32 v32, v10, v28
	s_delay_alu instid0(VALU_DEP_2) | instskip(NEXT) | instid1(VALU_DEP_2)
	v_fma_f32 v31, v10, v27, -v24
	v_fmac_f32_e32 v32, v11, v27
	global_load_b64 v[10:11], v[18:19], off offset:512
	ds_store_2addr_b64 v104, v[35:36], v[31:32] offset0:87 offset1:136
	s_waitcnt vmcnt(0)
	v_mul_f32_e32 v24, v26, v11
	v_mul_f32_e32 v44, v25, v11
	s_delay_alu instid0(VALU_DEP_2) | instskip(NEXT) | instid1(VALU_DEP_2)
	v_fma_f32 v43, v25, v10, -v24
	v_fmac_f32_e32 v44, v26, v10
	global_load_b64 v[10:11], v[18:19], off offset:3256
	ds_load_2addr_b64 v[24:27], v45 offset0:54 offset1:103
	s_waitcnt vmcnt(0) lgkmcnt(0)
	v_mul_f32_e32 v28, v25, v11
	v_mul_f32_e32 v32, v24, v11
	s_delay_alu instid0(VALU_DEP_2) | instskip(NEXT) | instid1(VALU_DEP_2)
	v_fma_f32 v31, v24, v10, -v28
	v_fmac_f32_e32 v32, v25, v10
	global_load_b64 v[10:11], v[14:15], off offset:1904
	ds_store_2addr_b64 v45, v[37:38], v[31:32] offset0:5 offset1:54
	s_waitcnt vmcnt(0)
	v_mul_f32_e32 v24, v30, v11
	v_mul_f32_e32 v37, v29, v11
	s_delay_alu instid0(VALU_DEP_2) | instskip(NEXT) | instid1(VALU_DEP_2)
	v_fma_f32 v36, v29, v10, -v24
	v_fmac_f32_e32 v37, v30, v10
	global_load_b64 v[10:11], v[6:7], off offset:552
	ds_load_2addr_b64 v[28:31], v46 offset0:100 offset1:149
	s_waitcnt vmcnt(0) lgkmcnt(0)
	;; [unrolled: 16-line block ×3, first 2 shown]
	v_mul_f32_e32 v24, v33, v11
	v_mul_f32_e32 v25, v32, v11
	s_delay_alu instid0(VALU_DEP_2) | instskip(NEXT) | instid1(VALU_DEP_2)
	v_fma_f32 v24, v32, v10, -v24
	v_fmac_f32_e32 v25, v33, v10
	global_load_b64 v[10:11], v[20:21], off offset:3528
	ds_store_2addr_b64 v110, v[41:42], v[24:25] offset0:49 offset1:98
	s_waitcnt vmcnt(0)
	v_mul_f32_e32 v24, v13, v11
	v_mul_f32_e32 v41, v12, v11
	s_delay_alu instid0(VALU_DEP_2)
	v_fma_f32 v40, v12, v10, -v24
	global_load_b64 v[24:25], v[18:19], off offset:904
	v_fmac_f32_e32 v41, v13, v10
	ds_load_2addr_b64 v[10:13], v60 offset0:16 offset1:65
	s_waitcnt vmcnt(0) lgkmcnt(0)
	v_mul_f32_e32 v28, v11, v25
	v_mul_f32_e32 v29, v10, v25
	s_delay_alu instid0(VALU_DEP_2) | instskip(NEXT) | instid1(VALU_DEP_2)
	v_fma_f32 v28, v10, v24, -v28
	v_fmac_f32_e32 v29, v11, v24
	global_load_b64 v[10:11], v[18:19], off offset:3648
	ds_store_2addr_b64 v52, v[43:44], v[28:29] offset0:95 offset1:144
	s_waitcnt vmcnt(0)
	v_mul_f32_e32 v24, v27, v11
	v_mul_f32_e32 v43, v26, v11
	s_delay_alu instid0(VALU_DEP_2) | instskip(NEXT) | instid1(VALU_DEP_2)
	v_fma_f32 v42, v26, v10, -v24
	v_fmac_f32_e32 v43, v27, v10
	global_load_b64 v[10:11], v[14:15], off offset:2296
	ds_load_2addr_b64 v[24:27], v56 offset0:190 offset1:239
	s_waitcnt vmcnt(0) lgkmcnt(0)
	v_mul_f32_e32 v28, v25, v11
	v_mul_f32_e32 v29, v24, v11
	s_delay_alu instid0(VALU_DEP_2) | instskip(NEXT) | instid1(VALU_DEP_2)
	v_fma_f32 v28, v24, v10, -v28
	v_fmac_f32_e32 v29, v25, v10
	global_load_b64 v[10:11], v[6:7], off offset:944
	ds_store_2addr_b64 v56, v[36:37], v[28:29] offset0:141 offset1:190
	v_mov_b32_e32 v56, v62
	s_delay_alu instid0(VALU_DEP_1) | instskip(SKIP_3) | instid1(VALU_DEP_2)
	v_mov_b32_e32 v116, v56
	s_waitcnt vmcnt(0)
	v_mul_f32_e32 v24, v31, v11
	v_mul_f32_e32 v37, v30, v11
	v_fma_f32 v36, v30, v10, -v24
	s_delay_alu instid0(VALU_DEP_2)
	v_fmac_f32_e32 v37, v31, v10
	global_load_b64 v[10:11], v[6:7], off offset:3688
	ds_load_2addr_b64 v[28:31], v107 offset0:108 offset1:157
	s_waitcnt vmcnt(0) lgkmcnt(0)
	v_mul_f32_e32 v24, v29, v11
	v_mul_f32_e32 v25, v28, v11
	s_delay_alu instid0(VALU_DEP_2) | instskip(NEXT) | instid1(VALU_DEP_2)
	v_fma_f32 v24, v28, v10, -v24
	v_fmac_f32_e32 v25, v29, v10
	global_load_b64 v[10:11], v[20:21], off offset:1176
	ds_store_2addr_b64 v107, v[38:39], v[24:25] offset0:59 offset1:108
	s_waitcnt vmcnt(0)
	v_mul_f32_e32 v24, v35, v11
	v_mul_f32_e32 v39, v34, v11
	s_delay_alu instid0(VALU_DEP_2) | instskip(NEXT) | instid1(VALU_DEP_2)
	v_fma_f32 v38, v34, v10, -v24
	v_fmac_f32_e32 v39, v35, v10
	global_load_b64 v[10:11], v[20:21], off offset:3920
	ds_load_2addr_b64 v[32:35], v62 offset0:106 offset1:155
	s_waitcnt vmcnt(0) lgkmcnt(0)
	v_mul_f32_e32 v24, v33, v11
	v_mul_f32_e32 v25, v32, v11
	s_delay_alu instid0(VALU_DEP_2) | instskip(NEXT) | instid1(VALU_DEP_2)
	v_fma_f32 v24, v32, v10, -v24
	v_fmac_f32_e32 v25, v33, v10
	global_load_b64 v[10:11], v[18:19], off offset:1296
	ds_store_2addr_b64 v104, v[40:41], v[24:25] offset0:185 offset1:234
	s_waitcnt vmcnt(0)
	v_mul_f32_e32 v24, v13, v11
	v_mul_f32_e32 v41, v12, v11
	s_delay_alu instid0(VALU_DEP_2)
	v_fma_f32 v40, v12, v10, -v24
	global_load_b64 v[24:25], v[18:19], off offset:4040
	v_fmac_f32_e32 v41, v13, v10
	ds_load_2addr_b64 v[10:13], v45 offset0:152 offset1:201
	s_waitcnt vmcnt(0) lgkmcnt(0)
	v_mul_f32_e32 v28, v11, v25
	v_mul_f32_e32 v29, v10, v25
	s_delay_alu instid0(VALU_DEP_2) | instskip(NEXT) | instid1(VALU_DEP_2)
	v_fma_f32 v28, v10, v24, -v28
	v_fmac_f32_e32 v29, v11, v24
	global_load_b64 v[10:11], v[14:15], off offset:2688
	ds_store_2addr_b64 v45, v[42:43], v[28:29] offset0:103 offset1:152
	s_waitcnt vmcnt(0)
	v_mul_f32_e32 v24, v27, v11
	v_mul_f32_e32 v43, v26, v11
	s_delay_alu instid0(VALU_DEP_2) | instskip(NEXT) | instid1(VALU_DEP_2)
	v_fma_f32 v42, v26, v10, -v24
	v_fmac_f32_e32 v43, v27, v10
	global_load_b64 v[10:11], v[6:7], off offset:1336
	ds_load_2addr_b64 v[24:27], v51 offset0:70 offset1:119
	s_waitcnt vmcnt(0) lgkmcnt(0)
	v_mul_f32_e32 v28, v25, v11
	v_mul_f32_e32 v29, v24, v11
	s_delay_alu instid0(VALU_DEP_2) | instskip(NEXT) | instid1(VALU_DEP_2)
	v_fma_f32 v28, v24, v10, -v28
	v_fmac_f32_e32 v29, v25, v10
	global_load_b64 v[10:11], v[6:7], off offset:4080
	ds_store_2addr_b64 v51, v[36:37], v[28:29] offset0:21 offset1:70
	s_waitcnt vmcnt(0)
	v_mul_f32_e32 v24, v31, v11
	v_mul_f32_e32 v37, v30, v11
	s_delay_alu instid0(VALU_DEP_2) | instskip(NEXT) | instid1(VALU_DEP_2)
	v_fma_f32 v36, v30, v10, -v24
	v_fmac_f32_e32 v37, v31, v10
	global_load_b64 v[10:11], v[20:21], off offset:1568
	ds_load_2addr_b64 v[28:31], v110 offset0:196 offset1:245
	s_waitcnt vmcnt(0) lgkmcnt(0)
	v_mul_f32_e32 v24, v29, v11
	v_mul_f32_e32 v25, v28, v11
	s_delay_alu instid0(VALU_DEP_2) | instskip(NEXT) | instid1(VALU_DEP_2)
	v_fma_f32 v24, v28, v10, -v24
	v_fmac_f32_e32 v25, v29, v10
	ds_store_2addr_b64 v110, v[38:39], v[24:25] offset0:147 offset1:196
	v_add_co_u32 v38, vcc_lo, 0x5000, v53
	v_add_co_ci_u32_e32 v39, vcc_lo, 0, v54, vcc_lo
	global_load_b64 v[10:11], v[38:39], off offset:3040
	s_waitcnt vmcnt(0)
	v_mul_f32_e32 v24, v35, v11
	v_mul_f32_e32 v45, v34, v11
	s_delay_alu instid0(VALU_DEP_2) | instskip(NEXT) | instid1(VALU_DEP_2)
	v_fma_f32 v44, v34, v10, -v24
	v_fmac_f32_e32 v45, v35, v10
	global_load_b64 v[10:11], v[18:19], off offset:1688
	ds_load_2addr_b64 v[32:35], v60 offset0:114 offset1:163
	s_waitcnt vmcnt(0) lgkmcnt(0)
	v_mul_f32_e32 v24, v33, v11
	v_mul_f32_e32 v25, v32, v11
	s_delay_alu instid0(VALU_DEP_2) | instskip(NEXT) | instid1(VALU_DEP_2)
	v_fma_f32 v24, v32, v10, -v24
	v_fmac_f32_e32 v25, v33, v10
	global_load_b64 v[10:11], v[14:15], off offset:336
	ds_store_2addr_b64 v60, v[40:41], v[24:25] offset0:65 offset1:114
	s_waitcnt vmcnt(0)
	v_mul_f32_e32 v24, v13, v11
	v_mul_f32_e32 v41, v12, v11
	s_delay_alu instid0(VALU_DEP_2)
	v_fma_f32 v40, v12, v10, -v24
	global_load_b64 v[24:25], v[14:15], off offset:3080
	v_fmac_f32_e32 v41, v13, v10
	ds_load_2addr_b64 v[10:13], v109 offset0:32 offset1:81
	s_waitcnt vmcnt(0) lgkmcnt(0)
	v_mul_f32_e32 v28, v11, v25
	v_mul_f32_e32 v29, v10, v25
	s_delay_alu instid0(VALU_DEP_2) | instskip(NEXT) | instid1(VALU_DEP_2)
	v_fma_f32 v28, v10, v24, -v28
	v_fmac_f32_e32 v29, v11, v24
	global_load_b64 v[10:11], v[6:7], off offset:1728
	ds_store_2addr_b64 v48, v[42:43], v[28:29] offset0:111 offset1:160
	s_waitcnt vmcnt(0)
	v_mul_f32_e32 v24, v27, v11
	v_mul_f32_e32 v43, v26, v11
	s_delay_alu instid0(VALU_DEP_2) | instskip(SKIP_2) | instid1(VALU_DEP_4)
	v_fma_f32 v42, v26, v10, -v24
	v_add_co_u32 v24, vcc_lo, 0x9000, v53
	v_add_co_ci_u32_e32 v25, vcc_lo, 0, v54, vcc_lo
	v_fmac_f32_e32 v43, v27, v10
	ds_load_2addr_b64 v[26:29], v107 offset0:206 offset1:255
	global_load_b64 v[10:11], v[24:25], off offset:376
	s_waitcnt vmcnt(0) lgkmcnt(0)
	v_mul_f32_e32 v32, v27, v11
	v_mul_f32_e32 v33, v26, v11
	s_delay_alu instid0(VALU_DEP_2) | instskip(NEXT) | instid1(VALU_DEP_2)
	v_fma_f32 v32, v26, v10, -v32
	v_fmac_f32_e32 v33, v27, v10
	s_clause 0x1
	global_load_b64 v[10:11], v[20:21], off offset:1960
	global_load_b64 v[20:21], v[20:21], off offset:2352
	ds_store_2addr_b64 v107, v[36:37], v[32:33] offset0:157 offset1:206
	s_waitcnt vmcnt(1)
	v_mul_f32_e32 v26, v31, v11
	v_mul_f32_e32 v27, v30, v11
	s_delay_alu instid0(VALU_DEP_2) | instskip(NEXT) | instid1(VALU_DEP_2)
	v_fma_f32 v26, v30, v10, -v26
	v_fmac_f32_e32 v27, v31, v10
	global_load_b64 v[10:11], v[38:39], off offset:3432
	ds_load_2addr_b64 v[30:33], v57 offset0:76 offset1:125
	s_waitcnt vmcnt(0) lgkmcnt(0)
	v_mul_f32_e32 v36, v31, v11
	v_mul_f32_e32 v37, v30, v11
	s_delay_alu instid0(VALU_DEP_2) | instskip(NEXT) | instid1(VALU_DEP_2)
	v_fma_f32 v36, v30, v10, -v36
	v_fmac_f32_e32 v37, v31, v10
	global_load_b64 v[10:11], v[18:19], off offset:2080
	ds_store_2addr_b64 v57, v[44:45], v[36:37] offset0:27 offset1:76
	s_waitcnt vmcnt(0)
	v_mul_f32_e32 v30, v35, v11
	v_mul_f32_e32 v31, v34, v11
	s_delay_alu instid0(VALU_DEP_2) | instskip(NEXT) | instid1(VALU_DEP_2)
	v_fma_f32 v30, v34, v10, -v30
	v_fmac_f32_e32 v31, v35, v10
	global_load_b64 v[10:11], v[14:15], off offset:728
	ds_load_2addr_b64 v[34:37], v119 offset0:122 offset1:171
	s_waitcnt vmcnt(0) lgkmcnt(0)
	v_mul_f32_e32 v44, v35, v11
	v_mul_f32_e32 v45, v34, v11
	s_delay_alu instid0(VALU_DEP_2) | instskip(NEXT) | instid1(VALU_DEP_2)
	v_fma_f32 v44, v34, v10, -v44
	v_fmac_f32_e32 v45, v35, v10
	global_load_b64 v[10:11], v[14:15], off offset:3472
	ds_store_2addr_b64 v112, v[40:41], v[44:45] offset0:201 offset1:250
	global_load_b64 v[40:41], v[6:7], off offset:2120
	s_waitcnt vmcnt(1)
	v_mul_f32_e32 v34, v13, v11
	v_mul_f32_e32 v35, v12, v11
	s_delay_alu instid0(VALU_DEP_2) | instskip(NEXT) | instid1(VALU_DEP_2)
	v_fma_f32 v34, v12, v10, -v34
	v_fmac_f32_e32 v35, v13, v10
	ds_load_2addr_b64 v[10:13], v51 offset0:168 offset1:217
	s_waitcnt vmcnt(0) lgkmcnt(0)
	v_mul_f32_e32 v44, v11, v41
	v_mul_f32_e32 v45, v10, v41
	s_delay_alu instid0(VALU_DEP_2) | instskip(NEXT) | instid1(VALU_DEP_2)
	v_fma_f32 v44, v10, v40, -v44
	v_fmac_f32_e32 v45, v11, v40
	global_load_b64 v[40:41], v[24:25], off offset:768
	ds_store_2addr_b64 v51, v[42:43], v[44:45] offset0:119 offset1:168
	s_waitcnt vmcnt(0)
	v_mul_f32_e32 v10, v29, v41
	v_mul_f32_e32 v11, v28, v41
	s_delay_alu instid0(VALU_DEP_2) | instskip(NEXT) | instid1(VALU_DEP_2)
	v_fma_f32 v10, v28, v40, -v10
	v_fmac_f32_e32 v11, v29, v40
	v_mul_f32_e32 v28, v9, v21
	v_mul_f32_e32 v29, v8, v21
	s_delay_alu instid0(VALU_DEP_2) | instskip(NEXT) | instid1(VALU_DEP_2)
	v_fma_f32 v28, v8, v20, -v28
	v_dual_fmac_f32 v29, v9, v20 :: v_dual_add_nc_u32 v8, 0x400, v110
	ds_store_2addr_b64 v8, v[26:27], v[28:29] offset0:117 offset1:166
	global_load_b64 v[8:9], v[38:39], off offset:3824
	s_waitcnt vmcnt(0)
	v_mul_f32_e32 v20, v33, v9
	v_mul_f32_e32 v21, v32, v9
	s_delay_alu instid0(VALU_DEP_2) | instskip(NEXT) | instid1(VALU_DEP_2)
	v_fma_f32 v20, v32, v8, -v20
	v_fmac_f32_e32 v21, v33, v8
	global_load_b64 v[8:9], v[18:19], off offset:2472
	ds_store_2addr_b64 v57, v[20:21], v[22:23] offset0:125 offset1:174
	s_waitcnt vmcnt(0)
	v_mul_f32_e32 v18, v5, v9
	v_mul_f32_e32 v19, v4, v9
	s_delay_alu instid0(VALU_DEP_2) | instskip(NEXT) | instid1(VALU_DEP_2)
	v_fma_f32 v18, v4, v8, -v18
	v_fmac_f32_e32 v19, v5, v8
	global_load_b64 v[4:5], v[14:15], off offset:1120
	ds_store_2addr_b64 v60, v[30:31], v[18:19] offset0:163 offset1:212
	;; [unrolled: 8-line block ×4, first 2 shown]
	s_waitcnt vmcnt(0)
	v_mul_f32_e32 v4, v13, v1
	v_mul_f32_e32 v5, v12, v1
	s_delay_alu instid0(VALU_DEP_2) | instskip(NEXT) | instid1(VALU_DEP_2)
	v_fma_f32 v4, v12, v0, -v4
	v_dual_fmac_f32 v5, v13, v0 :: v_dual_add_nc_u32 v0, 0x3c00, v110
	ds_store_2addr_b64 v0, v[4:5], v[2:3] offset0:89 offset1:138
	global_load_b64 v[2:3], v[24:25], off offset:1160
	ds_load_b64 v[0:1], v110 offset:18816
	s_waitcnt vmcnt(0) lgkmcnt(0)
	v_mul_f32_e32 v4, v1, v3
	v_mul_f32_e32 v5, v0, v3
	s_delay_alu instid0(VALU_DEP_2) | instskip(NEXT) | instid1(VALU_DEP_2)
	v_fma_f32 v4, v0, v2, -v4
	v_fmac_f32_e32 v5, v1, v2
	ds_store_2addr_b64 v50, v[10:11], v[4:5] offset0:127 offset1:176
	s_waitcnt lgkmcnt(0)
	s_barrier
	buffer_gl0_inv
	ds_load_2addr_b64 v[62:65], v110 offset1:49
	ds_load_2addr_b64 v[240:243], v104 offset0:38 offset1:87
	ds_load_2addr_b64 v[70:73], v57 offset0:174 offset1:223
	;; [unrolled: 1-line block ×23, first 2 shown]
	ds_load_b64 v[60:61], v110 offset:18816
	s_waitcnt lgkmcnt(20)
	v_add_f32_e32 v94, v254, v80
	s_waitcnt lgkmcnt(19)
	v_add_f32_e32 v92, v70, v246
	s_waitcnt lgkmcnt(18)
	v_dual_add_f32 v74, v242, v84 :: v_dual_add_f32 v75, v243, v85
	v_add_f32_e32 v93, v71, v247
	v_dual_sub_f32 v85, v243, v85 :: v_dual_sub_f32 v70, v70, v246
	s_delay_alu instid0(VALU_DEP_3)
	v_dual_add_f32 v96, v92, v74 :: v_dual_sub_f32 v71, v71, v247
	v_dual_add_f32 v95, v255, v81 :: v_dual_sub_f32 v80, v80, v254
	v_sub_f32_e32 v81, v81, v255
	v_dual_add_f32 v97, v93, v75 :: v_dual_sub_f32 v98, v92, v74
	v_sub_f32_e32 v74, v74, v94
	v_sub_f32_e32 v92, v94, v92
	v_add_f32_e32 v94, v94, v96
	v_dual_sub_f32 v84, v242, v84 :: v_dual_sub_f32 v99, v93, v75
	v_sub_f32_e32 v75, v75, v95
	v_sub_f32_e32 v93, v95, v93
	v_dual_add_f32 v101, v81, v71 :: v_dual_sub_f32 v102, v80, v70
	v_sub_f32_e32 v103, v81, v71
	v_sub_f32_e32 v71, v71, v85
	v_dual_add_f32 v95, v95, v97 :: v_dual_add_f32 v254, v94, v62
	v_dual_add_f32 v100, v80, v70 :: v_dual_sub_f32 v81, v85, v81
	v_dual_sub_f32 v70, v70, v84 :: v_dual_add_f32 v85, v101, v85
	s_delay_alu instid0(VALU_DEP_3)
	v_dual_add_f32 v255, v95, v63 :: v_dual_mul_f32 v62, 0x3f4a47b2, v74
	v_mul_f32_e32 v74, 0x3d64c772, v92
	v_dual_mul_f32 v96, 0x3f08b237, v102 :: v_dual_mul_f32 v97, 0x3f08b237, v103
	v_dual_mul_f32 v101, 0x3f5ff5aa, v71 :: v_dual_mov_b32 v102, v254
	v_sub_f32_e32 v80, v84, v80
	v_dual_add_f32 v84, v100, v84 :: v_dual_mul_f32 v63, 0x3f4a47b2, v75
	v_mul_f32_e32 v75, 0x3d64c772, v93
	v_mul_f32_e32 v100, 0x3f5ff5aa, v70
	v_fmac_f32_e32 v102, 0xbf955555, v94
	v_mov_b32_e32 v94, v255
	v_fmamk_f32 v92, v92, 0x3d64c772, v62
	v_fma_f32 v74, 0x3f3bfb3b, v98, -v74
	v_fma_f32 v62, 0xbf3bfb3b, v98, -v62
	;; [unrolled: 1-line block ×3, first 2 shown]
	v_fmac_f32_e32 v101, 0x3eae86e6, v81
	v_fmac_f32_e32 v94, 0xbf955555, v95
	v_fmamk_f32 v93, v93, 0x3d64c772, v63
	v_fma_f32 v75, 0x3f3bfb3b, v99, -v75
	v_fma_f32 v63, 0xbf3bfb3b, v99, -v63
	v_dual_fmamk_f32 v95, v80, 0xbeae86e6, v96 :: v_dual_fmamk_f32 v98, v81, 0xbeae86e6, v97
	v_fma_f32 v70, 0xbf5ff5aa, v70, -v96
	v_fmac_f32_e32 v100, 0x3eae86e6, v80
	v_add_f32_e32 v74, v74, v102
	v_dual_add_f32 v62, v62, v102 :: v_dual_fmac_f32 v71, 0xbee1c552, v85
	v_dual_fmac_f32 v101, 0xbee1c552, v85 :: v_dual_add_f32 v80, v92, v102
	v_add_f32_e32 v75, v75, v94
	v_add_f32_e32 v63, v63, v94
	v_dual_fmac_f32 v95, 0xbee1c552, v84 :: v_dual_fmac_f32 v98, 0xbee1c552, v85
	v_fmac_f32_e32 v70, 0xbee1c552, v84
	v_fmac_f32_e32 v100, 0xbee1c552, v84
	v_add_f32_e32 v84, v101, v62
	v_sub_f32_e32 v96, v74, v71
	v_add_f32_e32 v102, v71, v74
	v_sub_f32_e32 v92, v62, v101
	s_waitcnt lgkmcnt(17)
	v_add_f32_e32 v62, v88, v86
	s_waitcnt lgkmcnt(15)
	v_dual_add_f32 v74, v72, v0 :: v_dual_add_f32 v81, v93, v94
	v_add_f32_e32 v117, v80, v98
	v_sub_f32_e32 v85, v63, v100
	v_add_f32_e32 v97, v70, v75
	v_sub_f32_e32 v103, v75, v70
	v_add_f32_e32 v93, v100, v63
	v_dual_sub_f32 v94, v80, v98 :: v_dual_add_f32 v63, v89, v87
	v_dual_add_f32 v75, v73, v1 :: v_dual_sub_f32 v0, v72, v0
	v_add_f32_e32 v72, v4, v82
	v_add_f32_e32 v80, v74, v62
	v_dual_sub_f32 v118, v81, v95 :: v_dual_add_f32 v95, v95, v81
	v_dual_sub_f32 v70, v88, v86 :: v_dual_sub_f32 v1, v73, v1
	v_dual_add_f32 v73, v5, v83 :: v_dual_sub_f32 v4, v82, v4
	v_dual_add_f32 v81, v75, v63 :: v_dual_sub_f32 v82, v74, v62
	v_sub_f32_e32 v62, v62, v72
	v_sub_f32_e32 v74, v72, v74
	v_add_f32_e32 v72, v72, v80
	scratch_store_b64 off, v[84:85], off offset:928 ; 8-byte Folded Spill
	v_sub_f32_e32 v71, v89, v87
	v_sub_f32_e32 v5, v83, v5
	;; [unrolled: 1-line block ×4, first 2 shown]
	v_dual_sub_f32 v75, v73, v75 :: v_dual_add_f32 v84, v4, v0
	v_sub_f32_e32 v86, v4, v0
	v_dual_sub_f32 v88, v70, v4 :: v_dual_add_f32 v73, v73, v81
	v_dual_add_f32 v4, v72, v64 :: v_dual_add_f32 v85, v5, v1
	v_sub_f32_e32 v87, v5, v1
	v_sub_f32_e32 v89, v71, v5
	;; [unrolled: 1-line block ×3, first 2 shown]
	v_dual_add_f32 v5, v73, v65 :: v_dual_mul_f32 v80, 0x3f08b237, v86
	v_mov_b32_e32 v86, v4
	v_dual_sub_f32 v0, v0, v70 :: v_dual_add_f32 v71, v85, v71
	v_mul_f32_e32 v62, 0x3f4a47b2, v62
	v_mul_f32_e32 v65, 0x3d64c772, v75
	;; [unrolled: 1-line block ×3, first 2 shown]
	v_fmac_f32_e32 v86, 0xbf955555, v72
	v_mov_b32_e32 v72, v5
	v_dual_add_f32 v70, v84, v70 :: v_dual_mul_f32 v63, 0x3f4a47b2, v63
	v_mul_f32_e32 v64, 0x3d64c772, v74
	v_mul_f32_e32 v81, 0x3f08b237, v87
	;; [unrolled: 1-line block ×3, first 2 shown]
	v_fmac_f32_e32 v72, 0xbf955555, v73
	v_fmamk_f32 v73, v74, 0x3d64c772, v62
	v_fma_f32 v65, 0x3f3bfb3b, v83, -v65
	v_fma_f32 v62, 0xbf3bfb3b, v82, -v62
	;; [unrolled: 1-line block ×3, first 2 shown]
	v_fmac_f32_e32 v85, 0x3eae86e6, v89
	v_fmamk_f32 v74, v75, 0x3d64c772, v63
	v_fma_f32 v64, 0x3f3bfb3b, v82, -v64
	v_fma_f32 v63, 0xbf3bfb3b, v83, -v63
	;; [unrolled: 1-line block ×3, first 2 shown]
	v_fmac_f32_e32 v84, 0x3eae86e6, v88
	v_dual_add_f32 v65, v65, v72 :: v_dual_add_f32 v62, v62, v86
	v_dual_fmac_f32 v0, 0xbee1c552, v70 :: v_dual_fmac_f32 v85, 0xbee1c552, v71
	v_dual_add_f32 v64, v64, v86 :: v_dual_add_f32 v63, v63, v72
	s_delay_alu instid0(VALU_DEP_4) | instskip(NEXT) | instid1(VALU_DEP_3)
	v_dual_fmac_f32 v1, 0xbee1c552, v71 :: v_dual_fmac_f32 v84, 0xbee1c552, v70
	v_dual_add_f32 v242, v85, v62 :: v_dual_add_f32 v109, v0, v65
	v_sub_f32_e32 v106, v65, v0
	v_sub_f32_e32 v98, v62, v85
	s_waitcnt lgkmcnt(11)
	v_add_f32_e32 v0, v90, v8
	v_add_f32_e32 v62, v12, v2
	v_fmamk_f32 v75, v88, 0xbeae86e6, v80
	v_dual_sub_f32 v243, v63, v84 :: v_dual_sub_f32 v108, v64, v1
	v_add_f32_e32 v105, v1, v64
	v_add_f32_e32 v99, v84, v63
	v_add_f32_e32 v1, v91, v9
	v_dual_add_f32 v63, v13, v3 :: v_dual_sub_f32 v2, v12, v2
	v_add_f32_e32 v12, v6, v16
	v_sub_f32_e32 v6, v16, v6
	v_add_f32_e32 v16, v62, v0
	v_fmamk_f32 v82, v89, 0xbeae86e6, v81
	v_dual_fmac_f32 v75, 0xbee1c552, v70 :: v_dual_sub_f32 v8, v90, v8
	v_sub_f32_e32 v3, v13, v3
	v_add_f32_e32 v13, v7, v17
	v_sub_f32_e32 v7, v17, v7
	v_dual_add_f32 v17, v63, v1 :: v_dual_sub_f32 v64, v62, v0
	v_sub_f32_e32 v70, v0, v12
	v_sub_f32_e32 v62, v12, v62
	v_add_f32_e32 v0, v6, v2
	v_dual_add_f32 v12, v12, v16 :: v_dual_add_f32 v73, v73, v86
	v_add_f32_e32 v74, v74, v72
	v_dual_fmac_f32 v82, 0xbee1c552, v71 :: v_dual_sub_f32 v9, v91, v9
	v_sub_f32_e32 v65, v63, v1
	v_sub_f32_e32 v71, v1, v13
	;; [unrolled: 1-line block ×3, first 2 shown]
	v_dual_add_f32 v1, v7, v3 :: v_dual_sub_f32 v72, v6, v2
	v_sub_f32_e32 v6, v8, v6
	v_dual_sub_f32 v2, v2, v8 :: v_dual_add_f32 v13, v13, v17
	v_add_f32_e32 v8, v0, v8
	v_add_f32_e32 v0, v12, v52
	v_dual_add_f32 v246, v73, v82 :: v_dual_sub_f32 v247, v74, v75
	v_sub_f32_e32 v100, v73, v82
	v_add_f32_e32 v101, v75, v74
	v_sub_f32_e32 v73, v7, v3
	v_sub_f32_e32 v7, v9, v7
	;; [unrolled: 1-line block ×3, first 2 shown]
	v_add_f32_e32 v9, v1, v9
	v_dual_add_f32 v1, v13, v53 :: v_dual_mov_b32 v74, v0
	v_dual_mul_f32 v16, 0x3f4a47b2, v70 :: v_dual_mul_f32 v17, 0x3f4a47b2, v71
	v_dual_mul_f32 v52, 0x3d64c772, v62 :: v_dual_mul_f32 v53, 0x3d64c772, v63
	;; [unrolled: 1-line block ×3, first 2 shown]
	s_delay_alu instid0(VALU_DEP_4) | instskip(SKIP_4) | instid1(VALU_DEP_4)
	v_fmac_f32_e32 v74, 0xbf955555, v12
	v_mov_b32_e32 v12, v1
	v_dual_mul_f32 v72, 0x3f5ff5aa, v2 :: v_dual_mul_f32 v73, 0x3f5ff5aa, v3
	v_fma_f32 v52, 0x3f3bfb3b, v64, -v52
	v_fma_f32 v53, 0x3f3bfb3b, v65, -v53
	v_fmac_f32_e32 v12, 0xbf955555, v13
	v_dual_fmamk_f32 v13, v62, 0x3d64c772, v16 :: v_dual_fmamk_f32 v62, v63, 0x3d64c772, v17
	v_fma_f32 v2, 0xbf5ff5aa, v2, -v70
	v_fma_f32 v3, 0xbf5ff5aa, v3, -v71
	;; [unrolled: 1-line block ×4, first 2 shown]
	v_dual_fmamk_f32 v63, v6, 0xbeae86e6, v70 :: v_dual_fmamk_f32 v64, v7, 0xbeae86e6, v71
	v_dual_fmac_f32 v72, 0x3eae86e6, v6 :: v_dual_fmac_f32 v73, 0x3eae86e6, v7
	v_dual_add_f32 v6, v13, v74 :: v_dual_add_f32 v7, v62, v12
	v_dual_add_f32 v13, v52, v74 :: v_dual_add_f32 v62, v53, v12
	v_dual_fmac_f32 v2, 0xbee1c552, v8 :: v_dual_fmac_f32 v3, 0xbee1c552, v9
	v_add_f32_e32 v70, v17, v12
	v_dual_fmac_f32 v63, 0xbee1c552, v8 :: v_dual_fmac_f32 v64, 0xbee1c552, v9
	v_dual_fmac_f32 v72, 0xbee1c552, v8 :: v_dual_fmac_f32 v73, 0xbee1c552, v9
	s_delay_alu instid0(VALU_DEP_4)
	v_dual_sub_f32 v8, v13, v3 :: v_dual_add_f32 v9, v2, v62
	v_dual_add_f32 v12, v3, v13 :: v_dual_sub_f32 v13, v62, v2
	s_waitcnt lgkmcnt(10)
	v_add_f32_e32 v62, v20, v10
	v_sub_f32_e32 v10, v20, v10
	s_waitcnt lgkmcnt(8)
	v_dual_add_f32 v20, v14, v24 :: v_dual_sub_f32 v17, v7, v63
	v_add_f32_e32 v7, v63, v7
	v_add_f32_e32 v63, v21, v11
	v_sub_f32_e32 v11, v21, v11
	v_dual_add_f32 v21, v15, v25 :: v_dual_sub_f32 v14, v14, v24
	v_add_f32_e32 v24, v28, v18
	v_sub_f32_e32 v18, v18, v28
	v_add_f32_e32 v28, v20, v62
	v_dual_add_f32 v65, v16, v74 :: v_dual_add_f32 v16, v6, v64
	v_dual_sub_f32 v6, v6, v64 :: v_dual_sub_f32 v15, v15, v25
	v_add_f32_e32 v25, v29, v19
	v_sub_f32_e32 v19, v19, v29
	v_dual_add_f32 v29, v21, v63 :: v_dual_sub_f32 v64, v20, v62
	v_sub_f32_e32 v62, v62, v24
	v_sub_f32_e32 v20, v24, v20
	v_add_f32_e32 v24, v24, v28
	v_add_f32_e32 v52, v73, v65
	v_sub_f32_e32 v2, v65, v73
	v_sub_f32_e32 v65, v21, v63
	v_sub_f32_e32 v63, v63, v25
	v_sub_f32_e32 v21, v25, v21
	v_dual_add_f32 v25, v25, v29 :: v_dual_add_f32 v54, v24, v54
	v_add_f32_e32 v71, v19, v15
	v_sub_f32_e32 v73, v19, v15
	v_sub_f32_e32 v15, v15, v11
	s_delay_alu instid0(VALU_DEP_4)
	v_dual_add_f32 v55, v25, v55 :: v_dual_mov_b32 v74, v54
	v_sub_f32_e32 v53, v70, v72
	v_add_f32_e32 v3, v72, v70
	v_add_f32_e32 v70, v18, v14
	v_dual_sub_f32 v72, v18, v14 :: v_dual_sub_f32 v19, v11, v19
	v_dual_sub_f32 v14, v14, v10 :: v_dual_add_f32 v11, v71, v11
	v_dual_mul_f32 v28, 0x3f4a47b2, v62 :: v_dual_mul_f32 v29, 0x3f4a47b2, v63
	v_dual_mul_f32 v62, 0x3d64c772, v20 :: v_dual_mul_f32 v63, 0x3d64c772, v21
	v_mul_f32_e32 v71, 0x3f08b237, v73
	v_mul_f32_e32 v73, 0x3f5ff5aa, v15
	v_fmac_f32_e32 v74, 0xbf955555, v24
	v_mov_b32_e32 v24, v55
	v_sub_f32_e32 v18, v10, v18
	v_add_f32_e32 v10, v70, v10
	v_mul_f32_e32 v70, 0x3f08b237, v72
	v_mul_f32_e32 v72, 0x3f5ff5aa, v14
	v_fmac_f32_e32 v24, 0xbf955555, v25
	v_dual_fmamk_f32 v20, v20, 0x3d64c772, v28 :: v_dual_fmamk_f32 v21, v21, 0x3d64c772, v29
	v_fma_f32 v25, 0x3f3bfb3b, v64, -v62
	v_fma_f32 v62, 0x3f3bfb3b, v65, -v63
	;; [unrolled: 1-line block ×3, first 2 shown]
	v_fmac_f32_e32 v73, 0x3eae86e6, v19
	v_fmamk_f32 v63, v18, 0xbeae86e6, v70
	v_fma_f32 v14, 0xbf5ff5aa, v14, -v70
	v_fma_f32 v15, 0xbf5ff5aa, v15, -v71
	v_fmac_f32_e32 v72, 0x3eae86e6, v18
	v_add_f32_e32 v70, v21, v24
	v_dual_add_f32 v21, v62, v24 :: v_dual_add_f32 v62, v28, v74
	v_fmac_f32_e32 v73, 0xbee1c552, v11
	v_fma_f32 v29, 0xbf3bfb3b, v65, -v29
	v_dual_fmamk_f32 v64, v19, 0xbeae86e6, v71 :: v_dual_add_f32 v65, v20, v74
	v_add_f32_e32 v20, v25, v74
	v_fmac_f32_e32 v63, 0xbee1c552, v10
	v_dual_fmac_f32 v14, 0xbee1c552, v10 :: v_dual_fmac_f32 v15, 0xbee1c552, v11
	v_fmac_f32_e32 v72, 0xbee1c552, v10
	v_add_f32_e32 v28, v73, v62
	v_sub_f32_e32 v10, v62, v73
	s_waitcnt lgkmcnt(4)
	v_add_f32_e32 v62, v22, v32
	v_sub_f32_e32 v22, v22, v32
	v_add_f32_e32 v32, v36, v26
	v_fmac_f32_e32 v64, 0xbee1c552, v11
	v_sub_f32_e32 v25, v70, v63
	v_sub_f32_e32 v18, v20, v15
	v_add_f32_e32 v20, v15, v20
	v_add_f32_e32 v15, v63, v70
	;; [unrolled: 1-line block ×3, first 2 shown]
	v_sub_f32_e32 v23, v23, v33
	v_dual_add_f32 v33, v37, v27 :: v_dual_sub_f32 v26, v36, v26
	v_add_f32_e32 v36, v30, v40
	v_sub_f32_e32 v30, v40, v30
	v_dual_add_f32 v40, v32, v62 :: v_dual_add_f32 v71, v29, v24
	v_dual_add_f32 v24, v65, v64 :: v_dual_add_f32 v19, v14, v21
	v_sub_f32_e32 v21, v21, v14
	v_sub_f32_e32 v14, v65, v64
	;; [unrolled: 1-line block ×3, first 2 shown]
	v_add_f32_e32 v37, v31, v41
	v_sub_f32_e32 v31, v41, v31
	v_dual_add_f32 v41, v33, v63 :: v_dual_sub_f32 v64, v32, v62
	v_sub_f32_e32 v62, v62, v36
	v_sub_f32_e32 v32, v36, v32
	v_dual_add_f32 v36, v36, v40 :: v_dual_sub_f32 v65, v33, v63
	v_sub_f32_e32 v63, v63, v37
	v_sub_f32_e32 v33, v37, v33
	s_delay_alu instid0(VALU_DEP_3)
	v_dual_add_f32 v37, v37, v41 :: v_dual_add_f32 v56, v36, v56
	v_sub_f32_e32 v29, v71, v72
	v_add_f32_e32 v11, v72, v71
	v_add_f32_e32 v71, v31, v27
	v_sub_f32_e32 v73, v31, v27
	v_sub_f32_e32 v27, v27, v23
	v_dual_add_f32 v57, v37, v57 :: v_dual_mov_b32 v74, v56
	v_add_f32_e32 v70, v30, v26
	v_dual_sub_f32 v72, v30, v26 :: v_dual_sub_f32 v31, v23, v31
	v_dual_sub_f32 v26, v26, v22 :: v_dual_add_f32 v23, v71, v23
	v_dual_mul_f32 v40, 0x3f4a47b2, v62 :: v_dual_mul_f32 v41, 0x3f4a47b2, v63
	v_dual_mul_f32 v62, 0x3d64c772, v32 :: v_dual_mul_f32 v63, 0x3d64c772, v33
	v_mul_f32_e32 v71, 0x3f08b237, v73
	v_mul_f32_e32 v73, 0x3f5ff5aa, v27
	v_fmac_f32_e32 v74, 0xbf955555, v36
	v_mov_b32_e32 v36, v57
	v_sub_f32_e32 v30, v22, v30
	v_add_f32_e32 v22, v70, v22
	v_mul_f32_e32 v70, 0x3f08b237, v72
	v_mul_f32_e32 v72, 0x3f5ff5aa, v26
	v_fmac_f32_e32 v36, 0xbf955555, v37
	v_dual_fmamk_f32 v32, v32, 0x3d64c772, v40 :: v_dual_fmamk_f32 v33, v33, 0x3d64c772, v41
	v_fma_f32 v37, 0x3f3bfb3b, v64, -v62
	v_fma_f32 v62, 0x3f3bfb3b, v65, -v63
	;; [unrolled: 1-line block ×3, first 2 shown]
	v_fmac_f32_e32 v73, 0x3eae86e6, v31
	v_dual_fmamk_f32 v63, v30, 0xbeae86e6, v70 :: v_dual_fmamk_f32 v64, v31, 0xbeae86e6, v71
	v_fma_f32 v26, 0xbf5ff5aa, v26, -v70
	v_fma_f32 v27, 0xbf5ff5aa, v27, -v71
	v_fmac_f32_e32 v72, 0x3eae86e6, v30
	v_add_f32_e32 v70, v33, v36
	v_dual_add_f32 v33, v62, v36 :: v_dual_add_f32 v62, v40, v74
	v_fmac_f32_e32 v73, 0xbee1c552, v23
	v_fma_f32 v41, 0xbf3bfb3b, v65, -v41
	v_add_f32_e32 v65, v32, v74
	v_add_f32_e32 v32, v37, v74
	v_dual_fmac_f32 v63, 0xbee1c552, v22 :: v_dual_fmac_f32 v64, 0xbee1c552, v23
	v_dual_fmac_f32 v26, 0xbee1c552, v22 :: v_dual_fmac_f32 v27, 0xbee1c552, v23
	v_fmac_f32_e32 v72, 0xbee1c552, v22
	v_add_f32_e32 v40, v73, v62
	v_sub_f32_e32 v22, v62, v73
	s_waitcnt lgkmcnt(3)
	v_add_f32_e32 v62, v44, v34
	v_sub_f32_e32 v34, v44, v34
	s_waitcnt lgkmcnt(1)
	v_add_f32_e32 v44, v38, v48
	v_add_f32_e32 v71, v41, v36
	v_dual_add_f32 v36, v65, v64 :: v_dual_sub_f32 v37, v70, v63
	v_dual_sub_f32 v30, v32, v27 :: v_dual_add_f32 v31, v26, v33
	v_dual_add_f32 v32, v27, v32 :: v_dual_sub_f32 v33, v33, v26
	v_dual_sub_f32 v26, v65, v64 :: v_dual_add_f32 v27, v63, v70
	v_add_f32_e32 v63, v45, v35
	v_sub_f32_e32 v35, v45, v35
	v_dual_add_f32 v45, v39, v49 :: v_dual_sub_f32 v38, v38, v48
	v_add_f32_e32 v48, v248, v42
	v_sub_f32_e32 v42, v42, v248
	v_dual_add_f32 v64, v44, v62 :: v_dual_sub_f32 v41, v71, v72
	v_add_f32_e32 v23, v72, v71
	v_sub_f32_e32 v39, v39, v49
	v_add_f32_e32 v49, v249, v43
	v_sub_f32_e32 v43, v43, v249
	v_dual_add_f32 v65, v45, v63 :: v_dual_sub_f32 v72, v44, v62
	v_sub_f32_e32 v62, v62, v48
	v_sub_f32_e32 v44, v48, v44
	v_add_f32_e32 v70, v42, v38
	v_dual_add_f32 v48, v48, v64 :: v_dual_sub_f32 v73, v45, v63
	v_sub_f32_e32 v63, v63, v49
	v_sub_f32_e32 v45, v49, v45
	v_dual_add_f32 v71, v43, v39 :: v_dual_sub_f32 v74, v42, v38
	v_sub_f32_e32 v42, v34, v42
	v_dual_sub_f32 v38, v38, v34 :: v_dual_add_f32 v49, v49, v65
	v_add_f32_e32 v34, v70, v34
	v_dual_add_f32 v70, v48, v58 :: v_dual_sub_f32 v75, v43, v39
	v_sub_f32_e32 v43, v35, v43
	v_sub_f32_e32 v39, v39, v35
	v_add_f32_e32 v35, v71, v35
	s_delay_alu instid0(VALU_DEP_4)
	v_dual_add_f32 v71, v49, v59 :: v_dual_mov_b32 v80, v70
	v_dual_mul_f32 v58, 0x3f4a47b2, v62 :: v_dual_mul_f32 v59, 0x3f4a47b2, v63
	v_dual_mul_f32 v62, 0x3d64c772, v44 :: v_dual_mul_f32 v63, 0x3d64c772, v45
	v_mul_f32_e32 v65, 0x3f08b237, v75
	v_mul_f32_e32 v75, 0x3f5ff5aa, v39
	v_fmac_f32_e32 v80, 0xbf955555, v48
	v_mov_b32_e32 v48, v71
	v_mul_f32_e32 v64, 0x3f08b237, v74
	v_mul_f32_e32 v74, 0x3f5ff5aa, v38
	v_dual_fmamk_f32 v44, v44, 0x3d64c772, v58 :: v_dual_fmamk_f32 v45, v45, 0x3d64c772, v59
	s_delay_alu instid0(VALU_DEP_4)
	v_fmac_f32_e32 v48, 0xbf955555, v49
	v_fma_f32 v49, 0x3f3bfb3b, v72, -v62
	v_fma_f32 v62, 0x3f3bfb3b, v73, -v63
	;; [unrolled: 1-line block ×3, first 2 shown]
	v_fmac_f32_e32 v75, 0x3eae86e6, v43
	v_fma_f32 v59, 0xbf3bfb3b, v73, -v59
	v_dual_fmamk_f32 v63, v42, 0xbeae86e6, v64 :: v_dual_fmamk_f32 v72, v43, 0xbeae86e6, v65
	v_fma_f32 v38, 0xbf5ff5aa, v38, -v64
	v_fma_f32 v39, 0xbf5ff5aa, v39, -v65
	v_dual_fmac_f32 v74, 0x3eae86e6, v42 :: v_dual_add_f32 v65, v45, v48
	v_add_f32_e32 v45, v62, v48
	v_dual_add_f32 v62, v58, v80 :: v_dual_fmac_f32 v75, 0xbee1c552, v35
	v_add_f32_e32 v64, v44, v80
	v_add_f32_e32 v44, v49, v80
	;; [unrolled: 1-line block ×3, first 2 shown]
	v_dual_fmac_f32 v63, 0xbee1c552, v34 :: v_dual_fmac_f32 v72, 0xbee1c552, v35
	v_dual_fmac_f32 v38, 0xbee1c552, v34 :: v_dual_fmac_f32 v39, 0xbee1c552, v35
	v_fmac_f32_e32 v74, 0xbee1c552, v34
	v_add_f32_e32 v58, v75, v62
	v_sub_f32_e32 v34, v62, v75
	s_waitcnt lgkmcnt(0)
	v_add_f32_e32 v62, v46, v60
	v_sub_f32_e32 v46, v46, v60
	v_add_f32_e32 v60, v252, v50
	v_dual_add_f32 v48, v64, v72 :: v_dual_sub_f32 v49, v65, v63
	v_dual_sub_f32 v59, v73, v74 :: v_dual_sub_f32 v42, v44, v39
	v_dual_add_f32 v43, v38, v45 :: v_dual_add_f32 v44, v39, v44
	v_sub_f32_e32 v45, v45, v38
	v_dual_add_f32 v35, v74, v73 :: v_dual_sub_f32 v38, v64, v72
	v_add_f32_e32 v39, v63, v65
	v_add_f32_e32 v63, v47, v61
	v_sub_f32_e32 v47, v47, v61
	v_dual_add_f32 v61, v253, v51 :: v_dual_sub_f32 v50, v252, v50
	v_add_f32_e32 v64, v250, v244
	v_sub_f32_e32 v72, v244, v250
	v_dual_add_f32 v74, v60, v62 :: v_dual_sub_f32 v51, v253, v51
	v_add_f32_e32 v65, v251, v245
	v_sub_f32_e32 v73, v245, v251
	v_dual_add_f32 v75, v61, v63 :: v_dual_sub_f32 v80, v60, v62
	v_sub_f32_e32 v62, v62, v64
	v_sub_f32_e32 v60, v64, v60
	v_add_f32_e32 v82, v72, v50
	v_dual_add_f32 v64, v64, v74 :: v_dual_sub_f32 v81, v61, v63
	v_sub_f32_e32 v63, v63, v65
	v_sub_f32_e32 v61, v65, v61
	v_dual_add_f32 v83, v73, v51 :: v_dual_sub_f32 v84, v72, v50
	v_sub_f32_e32 v72, v46, v72
	v_dual_sub_f32 v50, v50, v46 :: v_dual_add_f32 v65, v65, v75
	v_add_f32_e32 v46, v82, v46
	v_dual_add_f32 v82, v64, v240 :: v_dual_sub_f32 v85, v73, v51
	v_sub_f32_e32 v73, v47, v73
	v_sub_f32_e32 v51, v51, v47
	v_add_f32_e32 v47, v83, v47
	s_delay_alu instid0(VALU_DEP_4) | instskip(SKIP_1) | instid1(VALU_DEP_4)
	v_dual_add_f32 v83, v65, v241 :: v_dual_mov_b32 v88, v82
	v_dual_mul_f32 v62, 0x3f4a47b2, v62 :: v_dual_mul_f32 v63, 0x3f4a47b2, v63
	v_dual_mul_f32 v86, 0x3f5ff5aa, v50 :: v_dual_mul_f32 v87, 0x3f5ff5aa, v51
	s_delay_alu instid0(VALU_DEP_3) | instskip(NEXT) | instid1(VALU_DEP_4)
	v_fmac_f32_e32 v88, 0xbf955555, v64
	v_mov_b32_e32 v64, v83
	v_dual_mul_f32 v74, 0x3d64c772, v60 :: v_dual_mul_f32 v75, 0x3d64c772, v61
	v_dual_mul_f32 v84, 0x3f08b237, v84 :: v_dual_mul_f32 v85, 0x3f08b237, v85
	s_delay_alu instid0(VALU_DEP_3)
	v_fmac_f32_e32 v64, 0xbf955555, v65
	v_dual_fmamk_f32 v60, v60, 0x3d64c772, v62 :: v_dual_fmamk_f32 v61, v61, 0x3d64c772, v63
	v_fma_f32 v62, 0xbf3bfb3b, v80, -v62
	v_fma_f32 v63, 0xbf3bfb3b, v81, -v63
	v_dual_fmac_f32 v86, 0x3eae86e6, v72 :: v_dual_fmac_f32 v87, 0x3eae86e6, v73
	v_fma_f32 v65, 0x3f3bfb3b, v80, -v74
	v_fma_f32 v74, 0x3f3bfb3b, v81, -v75
	v_dual_fmamk_f32 v89, v72, 0xbeae86e6, v84 :: v_dual_fmamk_f32 v90, v73, 0xbeae86e6, v85
	v_fma_f32 v50, 0xbf5ff5aa, v50, -v84
	v_fma_f32 v51, 0xbf5ff5aa, v51, -v85
	v_add_f32_e32 v62, v62, v88
	v_dual_add_f32 v63, v63, v64 :: v_dual_fmac_f32 v86, 0xbee1c552, v46
	v_fmac_f32_e32 v87, 0xbee1c552, v47
	v_add_f32_e32 v85, v61, v64
	v_add_f32_e32 v73, v74, v64
	v_dual_fmac_f32 v89, 0xbee1c552, v46 :: v_dual_fmac_f32 v90, 0xbee1c552, v47
	v_dual_fmac_f32 v50, 0xbee1c552, v46 :: v_dual_fmac_f32 v51, 0xbee1c552, v47
	v_add_f32_e32 v80, v87, v62
	v_dual_sub_f32 v81, v63, v86 :: v_dual_sub_f32 v46, v62, v87
	v_add_f32_e32 v47, v86, v63
	s_waitcnt_vscnt null, 0x0
	s_barrier
	buffer_gl0_inv
	s_clause 0x1
	scratch_load_b32 v62, off, off offset:920
	scratch_load_b64 v[63:64], off, off offset:928
	v_add_f32_e32 v84, v60, v88
	v_add_f32_e32 v65, v65, v88
	v_sub_f32_e32 v75, v85, v89
	v_add_f32_e32 v61, v50, v73
	v_sub_f32_e32 v73, v73, v50
	v_add_f32_e32 v74, v84, v90
	v_sub_f32_e32 v60, v65, v51
	v_add_f32_e32 v72, v51, v65
	v_dual_sub_f32 v50, v84, v90 :: v_dual_add_f32 v51, v89, v85
	s_waitcnt vmcnt(1)
	ds_store_b64 v62, v[254:255]
	s_waitcnt vmcnt(0)
	ds_store_2addr_b64 v62, v[117:118], v[63:64] offset0:1 offset1:2
	ds_store_2addr_b64 v62, v[96:97], v[102:103] offset0:3 offset1:4
	ds_store_2addr_b64 v62, v[92:93], v[94:95] offset0:5 offset1:6
	scratch_load_b32 v62, off, off offset:924 ; 4-byte Folded Reload
	s_waitcnt vmcnt(0)
	ds_store_b64 v62, v[4:5]
	ds_store_2addr_b64 v62, v[246:247], v[242:243] offset0:1 offset1:2
	ds_store_2addr_b64 v62, v[108:109], v[105:106] offset0:3 offset1:4
	ds_store_2addr_b64 v62, v[98:99], v[100:101] offset0:5 offset1:6
	scratch_load_b32 v4, off, off offset:916 ; 4-byte Folded Reload
	s_waitcnt vmcnt(0)
	ds_store_b64 v4, v[0:1]
	;; [unrolled: 6-line block ×5, first 2 shown]
	ds_store_2addr_b64 v0, v[48:49], v[58:59] offset0:1 offset1:2
	ds_store_2addr_b64 v0, v[42:43], v[44:45] offset0:3 offset1:4
	;; [unrolled: 1-line block ×3, first 2 shown]
	scratch_load_b32 v0, off, off offset:600 ; 4-byte Folded Reload
	v_add_nc_u32_e32 v5, 0x1c00, v110
	v_add_nc_u32_e32 v6, 0x3000, v110
	;; [unrolled: 1-line block ×3, first 2 shown]
	s_waitcnt vmcnt(0)
	ds_store_b64 v0, v[82:83]
	ds_store_2addr_b64 v0, v[74:75], v[80:81] offset0:1 offset1:2
	ds_store_2addr_b64 v0, v[60:61], v[72:73] offset0:3 offset1:4
	;; [unrolled: 1-line block ×3, first 2 shown]
	s_waitcnt lgkmcnt(0)
	s_barrier
	buffer_gl0_inv
	ds_load_2addr_b64 v[0:3], v110 offset1:49
	ds_load_2addr_b64 v[240:243], v104 offset0:38 offset1:87
	ds_load_2addr_b64 v[14:17], v114 offset0:174 offset1:223
	;; [unrolled: 1-line block ×23, first 2 shown]
	ds_load_b64 v[4:5], v110 offset:18816
	s_clause 0x2
	scratch_load_b128 v[8:11], off, off offset:552
	scratch_load_b128 v[18:21], off, off offset:536
	;; [unrolled: 1-line block ×3, first 2 shown]
	s_waitcnt lgkmcnt(11)
	v_mul_f32_e32 v52, v147, v73
	v_mul_f32_e32 v53, v147, v72
	s_delay_alu instid0(VALU_DEP_2) | instskip(NEXT) | instid1(VALU_DEP_2)
	v_fmac_f32_e32 v52, v146, v72
	v_fma_f32 v53, v146, v73, -v53
	s_waitcnt lgkmcnt(8)
	v_mul_f32_e32 v72, v185, v91
	s_waitcnt lgkmcnt(2)
	v_mul_f32_e32 v74, v221, v112
	s_waitcnt lgkmcnt(1)
	s_delay_alu instid0(VALU_DEP_2) | instskip(NEXT) | instid1(VALU_DEP_2)
	v_dual_mul_f32 v119, v141, v255 :: v_dual_fmac_f32 v72, v184, v90
	v_fmac_f32_e32 v74, v220, v111
	s_delay_alu instid0(VALU_DEP_2)
	v_fmac_f32_e32 v119, v140, v254
	s_waitcnt vmcnt(2)
	v_mul_f32_e32 v6, v9, v242
	v_mul_f32_e32 v12, v9, v243
	;; [unrolled: 1-line block ×3, first 2 shown]
	s_waitcnt vmcnt(1)
	v_mul_f32_e32 v7, v19, v56
	v_fma_f32 v13, v8, v243, -v6
	v_mul_f32_e32 v6, v11, v14
	v_fmac_f32_e32 v12, v8, v242
	v_dual_fmac_f32 v9, v10, v14 :: v_dual_mul_f32 v8, v21, v23
	v_fma_f32 v7, v18, v57, -v7
	s_delay_alu instid0(VALU_DEP_4)
	v_fma_f32 v11, v10, v15, -v6
	v_mul_f32_e32 v6, v19, v57
	v_mul_f32_e32 v10, v21, v22
	v_fmac_f32_e32 v8, v20, v22
	s_waitcnt vmcnt(0)
	v_dual_mul_f32 v22, v116, v31 :: v_dual_mul_f32 v57, v193, v86
	v_fmac_f32_e32 v6, v18, v56
	v_fma_f32 v10, v20, v23, -v10
	scratch_load_b128 v[18:21], off, off offset:568 ; 16-byte Folded Reload
	v_fmac_f32_e32 v22, v115, v30
	v_mul_f32_e32 v56, v197, v82
	v_fma_f32 v57, v192, v87, -v57
	s_waitcnt vmcnt(0)
	v_mul_f32_e32 v14, v19, v65
	v_mul_f32_e32 v15, v19, v64
	v_dual_mul_f32 v19, v118, v17 :: v_dual_mul_f32 v40, v21, v27
	s_delay_alu instid0(VALU_DEP_3) | instskip(SKIP_1) | instid1(VALU_DEP_4)
	v_fmac_f32_e32 v14, v18, v64
	v_mul_f32_e32 v64, v185, v90
	v_fma_f32 v15, v18, v65, -v15
	v_mul_f32_e32 v18, v21, v26
	v_fmac_f32_e32 v19, v117, v16
	v_mul_f32_e32 v16, v118, v16
	v_fma_f32 v73, v184, v91, -v64
	v_mul_f32_e32 v91, v239, v55
	v_fma_f32 v41, v20, v27, -v18
	;; [unrolled: 2-line block ×3, first 2 shown]
	v_fmac_f32_e32 v40, v20, v26
	v_fmac_f32_e32 v91, v238, v54
	v_mul_f32_e32 v18, v116, v30
	v_fmac_f32_e32 v90, v234, v62
	v_mul_f32_e32 v64, v187, v100
	v_mul_f32_e32 v54, v239, v54
	s_delay_alu instid0(VALU_DEP_4)
	v_fma_f32 v23, v115, v31, -v18
	scratch_load_b128 v[115:118], off, off offset:676 ; 16-byte Folded Reload
	s_waitcnt vmcnt(0)
	v_mul_f32_e32 v16, v116, v35
	v_dual_mul_f32 v17, v116, v34 :: v_dual_mul_f32 v18, v118, v25
	v_mul_f32_e32 v20, v118, v24
	s_delay_alu instid0(VALU_DEP_3) | instskip(NEXT) | instid1(VALU_DEP_3)
	v_fmac_f32_e32 v16, v115, v34
	v_fma_f32 v17, v115, v35, -v17
	s_delay_alu instid0(VALU_DEP_4) | instskip(NEXT) | instid1(VALU_DEP_4)
	v_fmac_f32_e32 v18, v117, v24
	v_fma_f32 v20, v117, v25, -v20
	scratch_load_b128 v[115:118], off, off offset:732 ; 16-byte Folded Reload
	s_waitcnt vmcnt(0)
	v_mul_f32_e32 v24, v116, v43
	v_dual_mul_f32 v25, v116, v42 :: v_dual_mul_f32 v26, v118, v29
	s_delay_alu instid0(VALU_DEP_2) | instskip(NEXT) | instid1(VALU_DEP_2)
	v_dual_mul_f32 v27, v118, v28 :: v_dual_fmac_f32 v24, v115, v42
	v_fma_f32 v25, v115, v43, -v25
	s_delay_alu instid0(VALU_DEP_3) | instskip(NEXT) | instid1(VALU_DEP_3)
	v_fmac_f32_e32 v26, v117, v28
	v_fma_f32 v27, v117, v29, -v27
	scratch_load_b128 v[115:118], off, off offset:800 ; 16-byte Folded Reload
	v_mul_f32_e32 v42, v161, v80
	v_mul_f32_e32 v43, v153, v84
	s_delay_alu instid0(VALU_DEP_1)
	v_fma_f32 v43, v152, v85, -v43
	s_waitcnt vmcnt(0)
	v_dual_mul_f32 v28, v116, v32 :: v_dual_mul_f32 v31, v118, v49
	v_mul_f32_e32 v34, v116, v33
	v_fma_f32 v116, v238, v55, -v54
	v_mul_f32_e32 v54, v233, v113
	s_delay_alu instid0(VALU_DEP_4) | instskip(SKIP_3) | instid1(VALU_DEP_3)
	v_fma_f32 v35, v115, v33, -v28
	v_mul_f32_e32 v28, v118, v48
	v_fmac_f32_e32 v31, v117, v48
	v_fmac_f32_e32 v34, v115, v32
	v_fma_f32 v33, v117, v49, -v28
	scratch_load_b128 v[46:49], off, off offset:832 ; 16-byte Folded Reload
	v_mul_f32_e32 v117, v237, v107
	s_waitcnt vmcnt(0)
	s_delay_alu instid0(VALU_DEP_1) | instskip(SKIP_2) | instid1(VALU_DEP_3)
	v_dual_fmac_f32 v117, v236, v106 :: v_dual_mul_f32 v28, v47, v37
	v_dual_mul_f32 v29, v47, v36 :: v_dual_mul_f32 v30, v49, v59
	v_mul_f32_e32 v32, v49, v58
	v_fmac_f32_e32 v28, v46, v36
	s_delay_alu instid0(VALU_DEP_3) | instskip(NEXT) | instid1(VALU_DEP_4)
	v_fma_f32 v29, v46, v37, -v29
	v_fmac_f32_e32 v30, v48, v58
	s_delay_alu instid0(VALU_DEP_4)
	v_fma_f32 v32, v48, v59, -v32
	scratch_load_b128 v[46:49], off, off offset:868 ; 16-byte Folded Reload
	v_mul_f32_e32 v59, v199, v93
	v_mul_f32_e32 v58, v195, v97
	s_waitcnt vmcnt(0) lgkmcnt(0)
	s_barrier
	buffer_gl0_inv
	v_dual_fmac_f32 v59, v198, v92 :: v_dual_mul_f32 v36, v47, v45
	v_dual_mul_f32 v37, v47, v44 :: v_dual_mul_f32 v38, v49, v71
	v_mul_f32_e32 v39, v49, v70
	v_fma_f32 v49, v160, v81, -v42
	v_mul_f32_e32 v42, v163, v50
	v_fmac_f32_e32 v36, v46, v44
	v_fma_f32 v37, v46, v45, -v37
	v_fmac_f32_e32 v38, v48, v70
	v_fma_f32 v39, v48, v71, -v39
	v_dual_mul_f32 v48, v161, v81 :: v_dual_mul_f32 v45, v163, v51
	v_fma_f32 v47, v162, v51, -v42
	v_mul_f32_e32 v46, v155, v60
	v_mul_f32_e32 v51, v145, v88
	v_fma_f32 v71, v196, v83, -v56
	v_mul_f32_e32 v56, v199, v92
	v_fma_f32 v81, v186, v101, -v64
	v_dual_mul_f32 v64, v229, v104 :: v_dual_fmac_f32 v45, v162, v50
	v_mul_f32_e32 v44, v155, v61
	v_fma_f32 v46, v154, v61, -v46
	v_mul_f32_e32 v50, v145, v89
	v_fma_f32 v51, v144, v89, -v51
	v_fma_f32 v61, v198, v93, -v56
	;; [unrolled: 1-line block ×3, first 2 shown]
	v_mul_f32_e32 v64, v231, v94
	v_fma_f32 v89, v232, v114, -v54
	v_mul_f32_e32 v54, v235, v62
	v_dual_mul_f32 v56, v193, v87 :: v_dual_add_nc_u32 v199, 0x2800, v110
	s_delay_alu instid0(VALU_DEP_4) | instskip(SKIP_1) | instid1(VALU_DEP_4)
	v_fma_f32 v87, v230, v95, -v64
	v_mul_f32_e32 v64, v221, v111
	v_fma_f32 v111, v234, v63, -v54
	v_dual_mul_f32 v54, v141, v254 :: v_dual_mul_f32 v141, v143, v5
	v_fmac_f32_e32 v56, v192, v86
	s_delay_alu instid0(VALU_DEP_4) | instskip(SKIP_1) | instid1(VALU_DEP_4)
	v_fma_f32 v75, v220, v112, -v64
	v_mul_f32_e32 v64, v223, v98
	v_dual_mul_f32 v42, v153, v85 :: v_dual_fmac_f32 v141, v142, v4
	v_mul_f32_e32 v4, v143, v4
	v_mul_f32_e32 v85, v231, v95
	s_delay_alu instid0(VALU_DEP_4)
	v_fma_f32 v86, v222, v99, -v64
	v_mul_f32_e32 v64, v217, v252
	v_mul_f32_e32 v92, v229, v105
	v_fma_f32 v142, v142, v5, -v4
	v_add_f32_e32 v4, v12, v40
	v_sub_f32_e32 v12, v12, v40
	v_add_f32_e32 v40, v9, v14
	v_fma_f32 v95, v216, v253, -v64
	v_dual_mul_f32 v64, v219, v102 :: v_dual_add_f32 v5, v13, v41
	v_sub_f32_e32 v13, v13, v41
	v_add_f32_e32 v41, v11, v15
	v_dual_sub_f32 v9, v9, v14 :: v_dual_add_f32 v14, v6, v8
	v_sub_f32_e32 v6, v8, v6
	v_add_f32_e32 v8, v40, v4
	v_fma_f32 v105, v218, v103, -v64
	v_dual_mul_f32 v64, v237, v106 :: v_dual_sub_f32 v11, v11, v15
	v_add_f32_e32 v15, v7, v10
	v_dual_sub_f32 v7, v10, v7 :: v_dual_add_f32 v10, v41, v5
	v_add_f32_e32 v62, v6, v9
	v_add_f32_e32 v8, v14, v8
	v_mul_f32_e32 v70, v197, v83
	v_fma_f32 v118, v236, v107, -v64
	v_fma_f32 v140, v140, v255, -v54
	v_sub_f32_e32 v54, v40, v4
	v_sub_f32_e32 v4, v4, v14
	v_dual_sub_f32 v40, v14, v40 :: v_dual_add_f32 v63, v7, v11
	v_sub_f32_e32 v64, v6, v9
	v_dual_sub_f32 v6, v12, v6 :: v_dual_sub_f32 v9, v9, v12
	v_add_f32_e32 v10, v15, v10
	v_add_f32_e32 v14, v62, v12
	;; [unrolled: 1-line block ×3, first 2 shown]
	v_dual_fmac_f32 v70, v196, v82 :: v_dual_sub_f32 v55, v41, v5
	v_sub_f32_e32 v5, v5, v15
	v_sub_f32_e32 v41, v15, v41
	;; [unrolled: 1-line block ×5, first 2 shown]
	v_add_f32_e32 v15, v63, v13
	v_dual_add_f32 v13, v10, v1 :: v_dual_mov_b32 v82, v12
	v_dual_mul_f32 v0, 0x3f4a47b2, v4 :: v_dual_mul_f32 v1, 0x3f4a47b2, v5
	v_mul_f32_e32 v62, 0x3f08b237, v64
	v_mul_f32_e32 v64, 0x3f5ff5aa, v9
	s_delay_alu instid0(VALU_DEP_4) | instskip(SKIP_4) | instid1(VALU_DEP_4)
	v_fmac_f32_e32 v82, 0xbf955555, v8
	v_mov_b32_e32 v8, v13
	v_dual_mul_f32 v4, 0x3d64c772, v40 :: v_dual_mul_f32 v5, 0x3d64c772, v41
	v_mul_f32_e32 v63, 0x3f08b237, v65
	v_mul_f32_e32 v65, 0x3f5ff5aa, v11
	v_fmac_f32_e32 v8, 0xbf955555, v10
	v_fmamk_f32 v10, v40, 0x3d64c772, v0
	v_fmamk_f32 v40, v41, 0x3d64c772, v1
	v_fma_f32 v1, 0xbf3bfb3b, v55, -v1
	v_fmamk_f32 v41, v6, 0xbeae86e6, v62
	v_fmac_f32_e32 v64, 0x3eae86e6, v6
	v_fma_f32 v4, 0x3f3bfb3b, v54, -v4
	v_fma_f32 v5, 0x3f3bfb3b, v55, -v5
	;; [unrolled: 1-line block ×3, first 2 shown]
	v_fmamk_f32 v54, v7, 0xbeae86e6, v63
	v_fma_f32 v55, 0xbf5ff5aa, v9, -v62
	v_fma_f32 v62, 0xbf5ff5aa, v11, -v63
	v_dual_fmac_f32 v65, 0x3eae86e6, v7 :: v_dual_add_f32 v40, v40, v8
	v_add_f32_e32 v1, v1, v8
	v_fmac_f32_e32 v41, 0xbee1c552, v14
	v_fmac_f32_e32 v64, 0xbee1c552, v14
	;; [unrolled: 1-line block ×5, first 2 shown]
	v_sub_f32_e32 v15, v40, v41
	v_sub_f32_e32 v9, v1, v64
	v_add_f32_e32 v7, v64, v1
	v_dual_add_f32 v1, v41, v40 :: v_dual_add_f32 v40, v22, v26
	v_sub_f32_e32 v22, v22, v26
	v_add_f32_e32 v26, v19, v24
	v_add_f32_e32 v41, v23, v27
	v_sub_f32_e32 v23, v23, v27
	v_add_f32_e32 v27, v21, v25
	v_dual_sub_f32 v19, v19, v24 :: v_dual_add_f32 v24, v16, v18
	v_sub_f32_e32 v16, v18, v16
	v_add_f32_e32 v18, v26, v40
	v_add_f32_e32 v63, v10, v82
	v_dual_add_f32 v0, v0, v82 :: v_dual_sub_f32 v21, v21, v25
	v_add_f32_e32 v25, v17, v20
	v_sub_f32_e32 v17, v20, v17
	v_add_f32_e32 v20, v27, v41
	v_add_f32_e32 v18, v24, v18
	v_dual_add_f32 v4, v4, v82 :: v_dual_add_f32 v5, v5, v8
	v_dual_fmac_f32 v55, 0xbee1c552, v14 :: v_dual_add_f32 v14, v54, v63
	v_add_f32_e32 v8, v65, v0
	v_sub_f32_e32 v6, v0, v65
	v_sub_f32_e32 v0, v63, v54
	;; [unrolled: 1-line block ×5, first 2 shown]
	v_add_f32_e32 v20, v25, v20
	v_add_f32_e32 v24, v18, v2
	v_dual_sub_f32 v10, v4, v62 :: v_dual_add_f32 v11, v55, v5
	v_dual_add_f32 v4, v62, v4 :: v_dual_sub_f32 v5, v5, v55
	v_sub_f32_e32 v55, v27, v41
	v_sub_f32_e32 v41, v41, v25
	;; [unrolled: 1-line block ×3, first 2 shown]
	v_add_f32_e32 v62, v16, v19
	v_dual_sub_f32 v64, v16, v19 :: v_dual_sub_f32 v19, v19, v22
	v_add_f32_e32 v25, v20, v3
	v_dual_mov_b32 v82, v24 :: v_dual_add_f32 v63, v17, v21
	v_dual_sub_f32 v65, v17, v21 :: v_dual_sub_f32 v16, v22, v16
	v_dual_sub_f32 v21, v21, v23 :: v_dual_add_f32 v22, v62, v22
	v_dual_mul_f32 v2, 0x3f4a47b2, v40 :: v_dual_mul_f32 v3, 0x3f4a47b2, v41
	v_dual_mul_f32 v40, 0x3d64c772, v26 :: v_dual_mul_f32 v41, 0x3d64c772, v27
	v_mul_f32_e32 v62, 0x3f08b237, v64
	v_mul_f32_e32 v64, 0x3f5ff5aa, v19
	v_fmac_f32_e32 v82, 0xbf955555, v18
	v_dual_mov_b32 v18, v25 :: v_dual_sub_f32 v17, v23, v17
	v_add_f32_e32 v23, v63, v23
	v_mul_f32_e32 v63, 0x3f08b237, v65
	v_mul_f32_e32 v65, 0x3f5ff5aa, v21
	s_delay_alu instid0(VALU_DEP_4)
	v_fmac_f32_e32 v18, 0xbf955555, v20
	v_fmamk_f32 v20, v26, 0x3d64c772, v2
	v_fmamk_f32 v26, v27, 0x3d64c772, v3
	v_fma_f32 v27, 0x3f3bfb3b, v54, -v40
	v_fma_f32 v40, 0x3f3bfb3b, v55, -v41
	;; [unrolled: 1-line block ×3, first 2 shown]
	v_fmamk_f32 v41, v16, 0xbeae86e6, v62
	v_fma_f32 v19, 0xbf5ff5aa, v19, -v62
	v_fmac_f32_e32 v64, 0x3eae86e6, v16
	v_fma_f32 v2, 0xbf3bfb3b, v54, -v2
	v_fmamk_f32 v54, v17, 0xbeae86e6, v63
	v_fma_f32 v55, 0xbf5ff5aa, v21, -v63
	v_fmac_f32_e32 v65, 0x3eae86e6, v17
	v_add_f32_e32 v63, v26, v18
	v_add_f32_e32 v17, v40, v18
	;; [unrolled: 1-line block ×3, first 2 shown]
	v_fmac_f32_e32 v41, 0xbee1c552, v22
	v_fmac_f32_e32 v19, 0xbee1c552, v22
	;; [unrolled: 1-line block ×3, first 2 shown]
	v_add_f32_e32 v40, v34, v38
	v_sub_f32_e32 v34, v34, v38
	v_add_f32_e32 v38, v31, v36
	v_add_f32_e32 v62, v20, v82
	v_add_f32_e32 v16, v27, v82
	v_add_f32_e32 v2, v2, v82
	v_fmac_f32_e32 v54, 0xbee1c552, v23
	v_fmac_f32_e32 v55, 0xbee1c552, v23
	;; [unrolled: 1-line block ×3, first 2 shown]
	v_sub_f32_e32 v27, v63, v41
	v_sub_f32_e32 v21, v3, v64
	v_add_f32_e32 v23, v19, v17
	v_sub_f32_e32 v17, v17, v19
	v_add_f32_e32 v19, v64, v3
	v_add_f32_e32 v3, v41, v63
	;; [unrolled: 1-line block ×3, first 2 shown]
	v_sub_f32_e32 v35, v35, v39
	v_add_f32_e32 v39, v33, v37
	v_dual_sub_f32 v31, v31, v36 :: v_dual_add_f32 v36, v28, v30
	v_sub_f32_e32 v28, v30, v28
	v_add_f32_e32 v30, v38, v40
	v_add_f32_e32 v26, v54, v62
	;; [unrolled: 1-line block ×3, first 2 shown]
	v_sub_f32_e32 v18, v2, v65
	v_dual_sub_f32 v2, v62, v54 :: v_dual_sub_f32 v33, v33, v37
	v_add_f32_e32 v37, v29, v32
	v_sub_f32_e32 v29, v32, v29
	v_add_f32_e32 v32, v39, v41
	v_sub_f32_e32 v54, v38, v40
	v_sub_f32_e32 v62, v36, v38
	v_add_f32_e32 v38, v28, v31
	v_add_f32_e32 v30, v36, v30
	v_sub_f32_e32 v22, v16, v55
	v_add_f32_e32 v16, v55, v16
	v_sub_f32_e32 v55, v39, v41
	v_sub_f32_e32 v63, v37, v39
	v_dual_add_f32 v39, v29, v33 :: v_dual_sub_f32 v64, v28, v31
	v_dual_sub_f32 v28, v34, v28 :: v_dual_sub_f32 v31, v31, v34
	v_add_f32_e32 v32, v37, v32
	v_add_f32_e32 v34, v38, v34
	;; [unrolled: 1-line block ×3, first 2 shown]
	v_fmac_f32_e32 v44, v154, v60
	v_mul_f32_e32 v60, v195, v96
	v_dual_sub_f32 v40, v40, v36 :: v_dual_sub_f32 v41, v41, v37
	v_sub_f32_e32 v65, v29, v33
	v_sub_f32_e32 v29, v35, v29
	;; [unrolled: 1-line block ×3, first 2 shown]
	v_add_f32_e32 v35, v39, v35
	v_add_f32_e32 v39, v32, v249
	v_dual_fmac_f32 v58, v194, v96 :: v_dual_add_nc_u32 v193, 0x3000, v110
	v_dual_mov_b32 v96, v38 :: v_dual_add_nc_u32 v197, 0x1800, v110
	v_dual_mul_f32 v36, 0x3f4a47b2, v40 :: v_dual_mul_f32 v37, 0x3f4a47b2, v41
	v_mul_f32_e32 v40, 0x3d64c772, v62
	v_mul_f32_e32 v64, 0x3f08b237, v64
	s_delay_alu instid0(VALU_DEP_4) | instskip(SKIP_4) | instid1(VALU_DEP_4)
	v_fmac_f32_e32 v96, 0xbf955555, v30
	v_dual_mov_b32 v30, v39 :: v_dual_mul_f32 v41, 0x3d64c772, v63
	v_mul_f32_e32 v65, 0x3f08b237, v65
	v_mul_f32_e32 v83, 0x3f5ff5aa, v33
	v_fma_f32 v40, 0x3f3bfb3b, v54, -v40
	v_fmac_f32_e32 v30, 0xbf955555, v32
	v_fmamk_f32 v32, v62, 0x3d64c772, v36
	v_fmamk_f32 v62, v63, 0x3d64c772, v37
	v_fma_f32 v36, 0xbf3bfb3b, v54, -v36
	v_fmamk_f32 v54, v28, 0xbeae86e6, v64
	v_fmac_f32_e32 v48, v160, v80
	v_fmac_f32_e32 v50, v144, v88
	v_mul_f32_e32 v82, 0x3f5ff5aa, v31
	v_fma_f32 v41, 0x3f3bfb3b, v55, -v41
	v_fma_f32 v37, 0xbf3bfb3b, v55, -v37
	v_fmamk_f32 v55, v29, 0xbeae86e6, v65
	v_fmac_f32_e32 v83, 0x3eae86e6, v29
	v_add_f32_e32 v29, v62, v30
	v_fmac_f32_e32 v54, 0xbee1c552, v34
	v_fmac_f32_e32 v42, v152, v84
	v_fma_f32 v31, 0xbf5ff5aa, v31, -v64
	v_fma_f32 v33, 0xbf5ff5aa, v33, -v65
	v_fmac_f32_e32 v82, 0x3eae86e6, v28
	v_add_f32_e32 v28, v32, v96
	v_dual_add_f32 v62, v41, v30 :: v_dual_fmac_f32 v55, 0xbee1c552, v35
	v_sub_f32_e32 v41, v29, v54
	v_dual_add_f32 v29, v54, v29 :: v_dual_add_f32 v54, v48, v52
	v_sub_f32_e32 v48, v48, v52
	v_add_f32_e32 v52, v45, v50
	v_add_f32_e32 v32, v40, v96
	;; [unrolled: 1-line block ×3, first 2 shown]
	v_fmac_f32_e32 v31, 0xbee1c552, v34
	v_dual_fmac_f32 v33, 0xbee1c552, v35 :: v_dual_fmac_f32 v82, 0xbee1c552, v34
	v_add_f32_e32 v40, v55, v28
	v_dual_sub_f32 v28, v28, v55 :: v_dual_add_f32 v55, v49, v53
	v_sub_f32_e32 v49, v49, v53
	v_add_f32_e32 v53, v47, v51
	v_dual_sub_f32 v45, v45, v50 :: v_dual_add_f32 v50, v42, v44
	v_sub_f32_e32 v42, v44, v42
	v_add_f32_e32 v44, v52, v54
	v_add_f32_e32 v63, v36, v96
	v_fmac_f32_e32 v83, 0xbee1c552, v35
	v_sub_f32_e32 v35, v64, v82
	v_dual_sub_f32 v36, v32, v33 :: v_dual_add_f32 v37, v31, v62
	v_dual_add_f32 v30, v33, v32 :: v_dual_sub_f32 v31, v62, v31
	v_add_f32_e32 v33, v82, v64
	v_sub_f32_e32 v47, v47, v51
	v_add_f32_e32 v51, v43, v46
	v_sub_f32_e32 v43, v46, v43
	v_add_f32_e32 v46, v53, v55
	v_sub_f32_e32 v62, v52, v54
	v_sub_f32_e32 v64, v50, v52
	v_add_f32_e32 v52, v42, v45
	v_add_f32_e32 v44, v50, v44
	v_mul_f32_e32 v84, v223, v99
	v_add_f32_e32 v34, v83, v63
	v_sub_f32_e32 v32, v63, v83
	v_sub_f32_e32 v63, v53, v55
	;; [unrolled: 1-line block ×3, first 2 shown]
	v_dual_add_f32 v53, v43, v47 :: v_dual_sub_f32 v82, v42, v45
	v_dual_sub_f32 v42, v48, v42 :: v_dual_sub_f32 v45, v45, v48
	v_add_f32_e32 v46, v51, v46
	v_add_f32_e32 v48, v52, v48
	;; [unrolled: 1-line block ×3, first 2 shown]
	v_fmac_f32_e32 v84, v222, v98
	v_dual_sub_f32 v54, v54, v50 :: v_dual_sub_f32 v55, v55, v51
	v_sub_f32_e32 v83, v43, v47
	v_sub_f32_e32 v43, v49, v43
	;; [unrolled: 1-line block ×3, first 2 shown]
	v_add_f32_e32 v49, v53, v49
	v_dual_add_f32 v53, v46, v251 :: v_dual_mov_b32 v98, v52
	v_dual_mul_f32 v50, 0x3f4a47b2, v54 :: v_dual_mul_f32 v51, 0x3f4a47b2, v55
	v_dual_mul_f32 v54, 0x3d64c772, v64 :: v_dual_mul_f32 v55, 0x3d64c772, v65
	v_mul_f32_e32 v82, 0x3f08b237, v82
	s_delay_alu instid0(VALU_DEP_4) | instskip(SKIP_4) | instid1(VALU_DEP_4)
	v_fmac_f32_e32 v98, 0xbf955555, v44
	v_mov_b32_e32 v44, v53
	v_fma_f32 v60, v194, v97, -v60
	v_dual_mul_f32 v80, v187, v101 :: v_dual_mul_f32 v83, 0x3f08b237, v83
	v_dual_mul_f32 v96, 0x3f5ff5aa, v45 :: v_dual_mul_f32 v97, 0x3f5ff5aa, v47
	v_fmac_f32_e32 v44, 0xbf955555, v46
	v_fmamk_f32 v46, v64, 0x3d64c772, v50
	v_fmamk_f32 v64, v65, 0x3d64c772, v51
	v_fma_f32 v54, 0x3f3bfb3b, v62, -v54
	v_fma_f32 v55, 0x3f3bfb3b, v63, -v55
	;; [unrolled: 1-line block ×3, first 2 shown]
	v_fmamk_f32 v62, v42, 0xbeae86e6, v82
	v_fma_f32 v45, 0xbf5ff5aa, v45, -v82
	v_dual_fmac_f32 v85, v230, v94 :: v_dual_mul_f32 v94, v217, v253
	v_fma_f32 v51, 0xbf3bfb3b, v63, -v51
	v_fmamk_f32 v63, v43, 0xbeae86e6, v83
	v_fma_f32 v47, 0xbf5ff5aa, v47, -v83
	v_fmac_f32_e32 v97, 0x3eae86e6, v43
	v_add_f32_e32 v43, v64, v44
	v_add_f32_e32 v64, v55, v44
	v_fmac_f32_e32 v62, 0xbee1c552, v48
	v_fmac_f32_e32 v45, 0xbee1c552, v48
	v_dual_fmac_f32 v80, v186, v100 :: v_dual_add_nc_u32 v217, 0x2400, v110
	v_fmac_f32_e32 v96, 0x3eae86e6, v42
	v_add_f32_e32 v42, v46, v98
	v_add_f32_e32 v46, v54, v98
	v_dual_add_f32 v65, v50, v98 :: v_dual_add_f32 v82, v51, v44
	v_fmac_f32_e32 v63, 0xbee1c552, v49
	v_fmac_f32_e32 v47, 0xbee1c552, v49
	;; [unrolled: 1-line block ×3, first 2 shown]
	v_sub_f32_e32 v55, v43, v62
	v_add_f32_e32 v51, v45, v64
	v_sub_f32_e32 v45, v64, v45
	v_add_f32_e32 v43, v62, v43
	v_add_f32_e32 v62, v70, v80
	v_sub_f32_e32 v64, v70, v80
	v_add_f32_e32 v70, v59, v72
	v_fmac_f32_e32 v96, 0xbee1c552, v48
	v_add_f32_e32 v54, v63, v42
	v_add_f32_e32 v48, v97, v65
	v_sub_f32_e32 v50, v46, v47
	v_add_f32_e32 v44, v47, v46
	v_sub_f32_e32 v46, v65, v97
	v_dual_sub_f32 v42, v42, v63 :: v_dual_add_f32 v63, v71, v81
	v_sub_f32_e32 v65, v71, v81
	v_add_f32_e32 v71, v61, v73
	v_dual_sub_f32 v59, v59, v72 :: v_dual_add_f32 v72, v56, v58
	v_sub_f32_e32 v56, v58, v56
	v_add_f32_e32 v58, v70, v62
	v_sub_f32_e32 v49, v82, v96
	v_add_f32_e32 v47, v96, v82
	;; [unrolled: 2-line block ×3, first 2 shown]
	v_dual_sub_f32 v57, v60, v57 :: v_dual_add_f32 v60, v71, v63
	v_add_f32_e32 v82, v56, v59
	v_add_f32_e32 v58, v72, v58
	s_delay_alu instid0(VALU_DEP_3)
	v_dual_sub_f32 v96, v56, v59 :: v_dual_add_f32 v83, v57, v61
	v_sub_f32_e32 v56, v64, v56
	v_sub_f32_e32 v59, v59, v64
	v_add_f32_e32 v60, v73, v60
	v_add_f32_e32 v64, v82, v64
	;; [unrolled: 1-line block ×3, first 2 shown]
	v_dual_sub_f32 v80, v70, v62 :: v_dual_sub_f32 v81, v71, v63
	v_dual_sub_f32 v62, v62, v72 :: v_dual_sub_f32 v63, v63, v73
	;; [unrolled: 1-line block ×3, first 2 shown]
	v_sub_f32_e32 v57, v65, v57
	v_sub_f32_e32 v61, v61, v65
	v_add_f32_e32 v65, v83, v65
	v_dual_add_f32 v83, v60, v245 :: v_dual_mov_b32 v100, v82
	v_dual_sub_f32 v71, v73, v71 :: v_dual_mul_f32 v62, 0x3f4a47b2, v62
	v_mul_f32_e32 v63, 0x3f4a47b2, v63
	v_mul_f32_e32 v72, 0x3d64c772, v70
	;; [unrolled: 1-line block ×4, first 2 shown]
	v_fmac_f32_e32 v100, 0xbf955555, v58
	v_mov_b32_e32 v58, v83
	v_fmac_f32_e32 v92, v228, v104
	v_mul_f32_e32 v104, v219, v103
	v_mul_f32_e32 v73, 0x3d64c772, v71
	;; [unrolled: 1-line block ×4, first 2 shown]
	v_fmac_f32_e32 v58, 0xbf955555, v60
	v_fmamk_f32 v60, v70, 0x3d64c772, v62
	v_fmamk_f32 v70, v71, 0x3d64c772, v63
	v_fma_f32 v71, 0x3f3bfb3b, v80, -v72
	v_fma_f32 v62, 0xbf3bfb3b, v80, -v62
	;; [unrolled: 1-line block ×3, first 2 shown]
	v_dual_fmac_f32 v99, 0x3eae86e6, v57 :: v_dual_fmac_f32 v94, v216, v252
	v_fmac_f32_e32 v104, v218, v102
	v_fma_f32 v72, 0x3f3bfb3b, v81, -v73
	v_fma_f32 v63, 0xbf3bfb3b, v81, -v63
	v_fmamk_f32 v101, v56, 0xbeae86e6, v96
	v_fma_f32 v59, 0xbf5ff5aa, v59, -v96
	v_fmac_f32_e32 v98, 0x3eae86e6, v56
	v_add_f32_e32 v56, v60, v100
	v_add_f32_e32 v60, v71, v100
	v_dual_add_f32 v62, v62, v100 :: v_dual_fmac_f32 v61, 0xbee1c552, v65
	v_fmac_f32_e32 v99, 0xbee1c552, v65
	v_dual_fmamk_f32 v102, v57, 0xbeae86e6, v97 :: v_dual_add_f32 v57, v70, v58
	v_add_f32_e32 v96, v72, v58
	v_add_f32_e32 v63, v63, v58
	v_fmac_f32_e32 v101, 0xbee1c552, v64
	v_fmac_f32_e32 v59, 0xbee1c552, v64
	;; [unrolled: 1-line block ×3, first 2 shown]
	v_add_f32_e32 v70, v99, v62
	v_sub_f32_e32 v80, v60, v61
	v_add_f32_e32 v58, v61, v60
	v_sub_f32_e32 v60, v62, v99
	;; [unrolled: 2-line block ×3, first 2 shown]
	v_add_f32_e32 v92, v85, v94
	v_dual_fmac_f32 v102, 0xbee1c552, v65 :: v_dual_sub_f32 v71, v63, v98
	v_add_f32_e32 v61, v98, v63
	v_add_f32_e32 v63, v93, v105
	v_sub_f32_e32 v65, v93, v105
	v_add_f32_e32 v93, v87, v95
	v_dual_sub_f32 v85, v85, v94 :: v_dual_add_f32 v94, v74, v84
	v_sub_f32_e32 v74, v84, v74
	v_dual_add_f32 v84, v92, v62 :: v_dual_sub_f32 v87, v87, v95
	v_add_f32_e32 v95, v75, v86
	v_sub_f32_e32 v75, v86, v75
	v_add_f32_e32 v86, v93, v63
	s_delay_alu instid0(VALU_DEP_4) | instskip(SKIP_2) | instid1(VALU_DEP_4)
	v_add_f32_e32 v84, v94, v84
	v_dual_add_f32 v72, v102, v56 :: v_dual_sub_f32 v73, v57, v101
	v_add_f32_e32 v81, v59, v96
	v_add_f32_e32 v86, v95, v86
	s_delay_alu instid0(VALU_DEP_4)
	v_add_f32_e32 v104, v84, v246
	v_sub_f32_e32 v59, v96, v59
	v_dual_sub_f32 v56, v56, v102 :: v_dual_add_f32 v57, v101, v57
	v_dual_sub_f32 v96, v92, v62 :: v_dual_sub_f32 v97, v93, v63
	v_dual_sub_f32 v62, v62, v94 :: v_dual_sub_f32 v63, v63, v95
	v_sub_f32_e32 v92, v94, v92
	v_dual_add_f32 v98, v74, v85 :: v_dual_add_f32 v99, v75, v87
	v_dual_sub_f32 v100, v74, v85 :: v_dual_sub_f32 v101, v75, v87
	v_sub_f32_e32 v87, v87, v65
	v_dual_add_f32 v105, v86, v247 :: v_dual_mov_b32 v102, v104
	v_dual_sub_f32 v93, v95, v93 :: v_dual_sub_f32 v74, v64, v74
	v_sub_f32_e32 v75, v65, v75
	v_sub_f32_e32 v85, v85, v64
	v_dual_add_f32 v64, v98, v64 :: v_dual_add_f32 v65, v99, v65
	v_dual_mul_f32 v62, 0x3f4a47b2, v62 :: v_dual_mul_f32 v63, 0x3f4a47b2, v63
	v_mul_f32_e32 v94, 0x3d64c772, v92
	v_dual_mul_f32 v98, 0x3f08b237, v100 :: v_dual_mul_f32 v99, 0x3f08b237, v101
	v_mul_f32_e32 v101, 0x3f5ff5aa, v87
	v_fmac_f32_e32 v102, 0xbf955555, v84
	v_dual_mov_b32 v84, v105 :: v_dual_mul_f32 v95, 0x3d64c772, v93
	v_mul_f32_e32 v100, 0x3f5ff5aa, v85
	v_fma_f32 v87, 0xbf5ff5aa, v87, -v99
	v_fmac_f32_e32 v101, 0x3eae86e6, v75
	s_delay_alu instid0(VALU_DEP_4)
	v_fmac_f32_e32 v84, 0xbf955555, v86
	v_fmamk_f32 v86, v92, 0x3d64c772, v62
	v_fmamk_f32 v92, v93, 0x3d64c772, v63
	v_fma_f32 v93, 0x3f3bfb3b, v96, -v94
	v_fma_f32 v62, 0xbf3bfb3b, v96, -v62
	v_fmamk_f32 v96, v74, 0xbeae86e6, v98
	v_mul_f32_e32 v88, v233, v114
	v_fma_f32 v94, 0x3f3bfb3b, v97, -v95
	v_fma_f32 v63, 0xbf3bfb3b, v97, -v63
	v_fmamk_f32 v97, v75, 0xbeae86e6, v99
	v_fmac_f32_e32 v100, 0x3eae86e6, v74
	v_dual_add_f32 v74, v86, v102 :: v_dual_add_f32 v75, v92, v84
	v_add_f32_e32 v86, v93, v102
	v_add_f32_e32 v62, v62, v102
	v_dual_fmac_f32 v96, 0xbee1c552, v64 :: v_dual_fmac_f32 v87, 0xbee1c552, v65
	v_fmac_f32_e32 v101, 0xbee1c552, v65
	v_fmac_f32_e32 v88, v232, v113
	v_fma_f32 v85, 0xbf5ff5aa, v85, -v98
	v_add_f32_e32 v98, v94, v84
	v_add_f32_e32 v63, v63, v84
	v_dual_sub_f32 v107, v75, v96 :: v_dual_add_f32 v92, v101, v62
	v_sub_f32_e32 v94, v86, v87
	v_add_f32_e32 v84, v87, v86
	v_dual_sub_f32 v86, v62, v101 :: v_dual_add_f32 v75, v96, v75
	v_add_f32_e32 v62, v117, v141
	v_dual_add_f32 v96, v91, v119 :: v_dual_fmac_f32 v85, 0xbee1c552, v64
	v_dual_fmac_f32 v100, 0xbee1c552, v64 :: v_dual_add_f32 v99, v88, v90
	v_sub_f32_e32 v88, v90, v88
	s_delay_alu instid0(VALU_DEP_3) | instskip(NEXT) | instid1(VALU_DEP_3)
	v_dual_add_f32 v90, v96, v62 :: v_dual_fmac_f32 v97, 0xbee1c552, v65
	v_sub_f32_e32 v93, v63, v100
	v_add_f32_e32 v95, v85, v98
	v_sub_f32_e32 v85, v98, v85
	v_dual_add_f32 v87, v100, v63 :: v_dual_sub_f32 v64, v117, v141
	v_sub_f32_e32 v65, v118, v142
	v_dual_sub_f32 v91, v91, v119 :: v_dual_sub_f32 v98, v116, v140
	v_dual_add_f32 v100, v89, v111 :: v_dual_sub_f32 v89, v111, v89
	v_add_f32_e32 v90, v99, v90
	v_add_f32_e32 v106, v97, v74
	v_sub_f32_e32 v74, v74, v97
	v_add_f32_e32 v63, v118, v142
	v_add_f32_e32 v97, v116, v140
	v_sub_f32_e32 v102, v96, v62
	v_sub_f32_e32 v62, v62, v99
	v_dual_add_f32 v108, v88, v91 :: v_dual_add_f32 v109, v89, v98
	v_dual_sub_f32 v111, v88, v91 :: v_dual_sub_f32 v112, v89, v98
	v_dual_sub_f32 v113, v64, v88 :: v_dual_sub_f32 v98, v98, v65
	v_dual_add_f32 v88, v90, v240 :: v_dual_add_f32 v101, v97, v63
	v_sub_f32_e32 v96, v99, v96
	v_sub_f32_e32 v114, v65, v89
	v_dual_add_f32 v65, v109, v65 :: v_dual_mul_f32 v62, 0x3f4a47b2, v62
	v_mul_f32_e32 v109, 0x3f08b237, v112
	v_dual_mul_f32 v112, 0x3f5ff5aa, v98 :: v_dual_mov_b32 v115, v88
	v_sub_f32_e32 v103, v97, v63
	v_sub_f32_e32 v63, v63, v100
	;; [unrolled: 1-line block ×3, first 2 shown]
	v_dual_add_f32 v99, v100, v101 :: v_dual_mul_f32 v100, 0x3d64c772, v96
	v_fmac_f32_e32 v115, 0xbf955555, v90
	v_fmamk_f32 v96, v96, 0x3d64c772, v62
	v_fma_f32 v62, 0xbf3bfb3b, v102, -v62
	s_delay_alu instid0(VALU_DEP_4) | instskip(SKIP_2) | instid1(VALU_DEP_4)
	v_dual_fmac_f32 v112, 0x3eae86e6, v114 :: v_dual_add_f32 v89, v99, v241
	v_sub_f32_e32 v91, v91, v64
	v_add_f32_e32 v64, v108, v64
	v_add_f32_e32 v62, v62, v115
	s_delay_alu instid0(VALU_DEP_4)
	v_fmac_f32_e32 v112, 0xbee1c552, v65
	v_mul_f32_e32 v63, 0x3f4a47b2, v63
	v_mul_f32_e32 v101, 0x3d64c772, v97
	;; [unrolled: 1-line block ×3, first 2 shown]
	v_mov_b32_e32 v90, v89
	v_add_f32_e32 v142, v112, v62
	v_sub_f32_e32 v140, v62, v112
	scratch_load_b32 v62, off, off offset:672 ; 4-byte Folded Reload
	s_waitcnt vmcnt(0)
	ds_store_2addr_b64 v62, v[12:13], v[14:15] offset1:7
	ds_store_2addr_b64 v62, v[8:9], v[10:11] offset0:14 offset1:21
	ds_store_2addr_b64 v62, v[4:5], v[6:7] offset0:28 offset1:35
	ds_store_b64 v62, v[0:1] offset:336
	scratch_load_b32 v0, off, off offset:692 ; 4-byte Folded Reload
	s_waitcnt vmcnt(0)
	ds_store_2addr_b64 v0, v[24:25], v[26:27] offset1:7
	ds_store_2addr_b64 v0, v[20:21], v[22:23] offset0:14 offset1:21
	ds_store_2addr_b64 v0, v[16:17], v[18:19] offset0:28 offset1:35
	ds_store_b64 v0, v[2:3] offset:336
	;; [unrolled: 6-line block ×6, first 2 shown]
	scratch_load_b32 v0, off, off offset:704 ; 4-byte Folded Reload
	v_mul_f32_e32 v111, 0x3f5ff5aa, v91
	v_fmac_f32_e32 v90, 0xbf955555, v99
	v_fmamk_f32 v97, v97, 0x3d64c772, v63
	v_fma_f32 v99, 0x3f3bfb3b, v102, -v100
	v_fma_f32 v100, 0x3f3bfb3b, v103, -v101
	v_dual_fmamk_f32 v101, v113, 0xbeae86e6, v108 :: v_dual_fmamk_f32 v102, v114, 0xbeae86e6, v109
	v_fma_f32 v63, 0xbf3bfb3b, v103, -v63
	v_fma_f32 v103, 0xbf5ff5aa, v91, -v108
	;; [unrolled: 1-line block ×3, first 2 shown]
	v_dual_fmac_f32 v111, 0x3eae86e6, v113 :: v_dual_add_f32 v96, v96, v115
	v_add_f32_e32 v97, v97, v90
	v_dual_fmac_f32 v101, 0xbee1c552, v64 :: v_dual_fmac_f32 v102, 0xbee1c552, v65
	v_dual_add_f32 v99, v99, v115 :: v_dual_add_f32 v100, v100, v90
	v_add_f32_e32 v63, v63, v90
	v_dual_fmac_f32 v103, 0xbee1c552, v64 :: v_dual_fmac_f32 v98, 0xbee1c552, v65
	v_fmac_f32_e32 v111, 0xbee1c552, v64
	v_dual_add_f32 v90, v102, v96 :: v_dual_sub_f32 v91, v97, v101
	v_add_nc_u32_e32 v196, 0x1000, v110
	s_delay_alu instid0(VALU_DEP_4) | instskip(NEXT) | instid1(VALU_DEP_4)
	v_sub_f32_e32 v144, v99, v98
	v_sub_f32_e32 v143, v63, v111
	v_dual_add_f32 v145, v103, v100 :: v_dual_add_f32 v118, v98, v99
	v_sub_f32_e32 v119, v100, v103
	v_dual_add_f32 v141, v111, v63 :: v_dual_sub_f32 v116, v96, v102
	v_add_f32_e32 v117, v101, v97
	s_waitcnt vmcnt(0)
	ds_store_2addr_b64 v0, v[88:89], v[90:91] offset1:7
	ds_store_2addr_b64 v0, v[142:143], v[144:145] offset0:14 offset1:21
	ds_store_2addr_b64 v0, v[118:119], v[140:141] offset0:28 offset1:35
	ds_store_b64 v0, v[116:117] offset:336
	s_waitcnt lgkmcnt(0)
	s_barrier
	buffer_gl0_inv
	ds_load_2addr_b64 v[10:13], v196 offset0:174 offset1:223
	v_add_nc_u32_e32 v216, 0x1c00, v110
	ds_load_2addr_b64 v[14:17], v199 offset0:92 offset1:141
	ds_load_2addr_b64 v[88:91], v193 offset0:130 offset1:179
	v_add_nc_u32_e32 v194, 0x800, v110
	v_add_nc_u32_e32 v192, 0x4000, v110
	ds_load_2addr_b64 v[62:65], v216 offset0:84 offset1:133
	ds_load_2addr_b64 v[4:7], v110 offset1:49
	v_add_nc_u32_e32 v198, 0x2000, v110
	ds_load_2addr_b64 v[28:31], v194 offset0:38 offset1:87
	ds_load_2addr_b64 v[18:21], v192 offset0:10 offset1:59
	;; [unrolled: 1-line block ×3, first 2 shown]
	v_add_nc_u32_e32 v218, 0x3400, v110
	v_add_nc_u32_e32 v119, 0xc00, v110
	;; [unrolled: 1-line block ×3, first 2 shown]
	ds_load_2addr_b64 v[36:39], v198 offset0:54 offset1:103
	ds_load_2addr_b64 v[40:43], v218 offset0:100 offset1:149
	;; [unrolled: 1-line block ×14, first 2 shown]
	s_waitcnt lgkmcnt(21)
	v_mul_f32_e32 v61, v69, v11
	ds_load_2addr_b64 v[160:163], v217 offset0:122 offset1:171
	ds_load_2addr_b64 v[184:187], v195 offset0:168 offset1:217
	ds_load_b64 v[8:9], v110 offset:18816
	s_waitcnt lgkmcnt(23)
	v_mul_f32_e32 v60, v79, v15
	s_waitcnt lgkmcnt(22)
	v_dual_mul_f32 v86, v121, v91 :: v_dual_fmac_f32 v61, v68, v10
	v_mul_f32_e32 v10, v69, v10
	s_delay_alu instid0(VALU_DEP_3)
	v_fmac_f32_e32 v60, v78, v14
	s_waitcnt lgkmcnt(21)
	v_mul_f32_e32 v58, v77, v65
	v_fmac_f32_e32 v86, v120, v90
	s_waitcnt lgkmcnt(17)
	v_mul_f32_e32 v56, v125, v25
	v_fma_f32 v71, v68, v11, -v10
	v_mul_f32_e32 v10, v77, v64
	v_fmac_f32_e32 v58, v76, v64
	s_waitcnt lgkmcnt(13)
	v_dual_mul_f32 v84, v77, v37 :: v_dual_mul_f32 v57, v127, v47
	v_mul_f32_e32 v45, v167, v49
	v_fma_f32 v59, v76, v65, -v10
	v_mul_f32_e32 v10, v79, v14
	s_delay_alu instid0(VALU_DEP_4) | instskip(NEXT) | instid1(VALU_DEP_4)
	v_fmac_f32_e32 v84, v76, v36
	v_dual_mul_f32 v26, v67, v30 :: v_dual_fmac_f32 v45, v166, v48
	v_fmac_f32_e32 v56, v124, v24
	s_delay_alu instid0(VALU_DEP_4)
	v_fma_f32 v70, v78, v15, -v10
	v_mul_f32_e32 v10, v121, v90
	v_mul_f32_e32 v90, v79, v17
	s_waitcnt lgkmcnt(10)
	v_mul_f32_e32 v44, v165, v103
	v_mul_f32_e32 v82, v67, v31
	v_fma_f32 v83, v66, v31, -v26
	v_fma_f32 v87, v120, v91, -v10
	v_dual_mul_f32 v10, v123, v18 :: v_dual_mul_f32 v91, v69, v13
	v_fmac_f32_e32 v44, v164, v102
	v_fmac_f32_e32 v90, v78, v16
	;; [unrolled: 1-line block ×3, first 2 shown]
	s_delay_alu instid0(VALU_DEP_4)
	v_fma_f32 v101, v122, v19, -v10
	v_dual_mul_f32 v10, v67, v22 :: v_dual_fmac_f32 v91, v68, v12
	s_waitcnt lgkmcnt(9)
	v_mul_f32_e32 v30, v177, v109
	v_mul_f32_e32 v100, v123, v19
	;; [unrolled: 1-line block ×3, first 2 shown]
	v_fma_f32 v95, v66, v23, -v10
	v_mul_f32_e32 v10, v69, v12
	v_fmac_f32_e32 v30, v176, v108
	v_fmac_f32_e32 v100, v122, v18
	v_mul_f32_e32 v94, v67, v23
	v_mul_f32_e32 v54, v151, v75
	v_fma_f32 v93, v68, v13, -v10
	scratch_load_b128 v[11:14], off, off offset:884 ; 16-byte Folded Reload
	v_mul_f32_e32 v10, v77, v36
	v_add_f32_e32 v67, v61, v86
	v_fmac_f32_e32 v94, v66, v22
	v_fmac_f32_e32 v54, v150, v74
	v_sub_f32_e32 v66, v83, v101
	v_fma_f32 v85, v76, v37, -v10
	v_dual_mul_f32 v10, v79, v16 :: v_dual_sub_f32 v61, v61, v86
	v_dual_add_f32 v86, v59, v70 :: v_dual_sub_f32 v59, v70, v59
	v_mul_f32_e32 v96, v121, v41
	s_delay_alu instid0(VALU_DEP_3) | instskip(SKIP_2) | instid1(VALU_DEP_4)
	v_fma_f32 v92, v78, v17, -v10
	v_mul_f32_e32 v10, v121, v40
	v_dual_mul_f32 v98, v123, v21 :: v_dual_fmac_f32 v57, v126, v46
	v_fmac_f32_e32 v96, v120, v40
	s_waitcnt lgkmcnt(8)
	v_mul_f32_e32 v40, v169, v114
	v_fma_f32 v97, v120, v41, -v10
	v_mul_f32_e32 v10, v123, v20
	v_fmac_f32_e32 v98, v122, v20
	s_waitcnt lgkmcnt(1)
	v_mul_f32_e32 v20, v201, v185
	v_fmac_f32_e32 v40, v168, v113
	v_mul_f32_e32 v22, v203, v147
	v_fma_f32 v99, v122, v21, -v10
	v_mul_f32_e32 v10, v125, v24
	v_mul_f32_e32 v24, v189, v105
	;; [unrolled: 1-line block ×3, first 2 shown]
	v_fmac_f32_e32 v20, v200, v184
	v_fmac_f32_e32 v22, v202, v146
	v_fma_f32 v65, v124, v25, -v10
	v_mul_f32_e32 v10, v127, v46
	v_fmac_f32_e32 v24, v188, v104
	v_dual_mul_f32 v25, v191, v116 :: v_dual_mul_f32 v46, v157, v107
	v_fmac_f32_e32 v18, v206, v142
	s_delay_alu instid0(VALU_DEP_4) | instskip(SKIP_1) | instid1(VALU_DEP_4)
	v_fma_f32 v68, v126, v47, -v10
	v_mov_b32_e32 v123, v119
	v_dual_fmac_f32 v25, v190, v115 :: v_dual_fmac_f32 v46, v156, v106
	s_waitcnt vmcnt(0)
	v_mul_f32_e32 v10, v12, v38
	v_mul_f32_e32 v64, v12, v39
	;; [unrolled: 1-line block ×3, first 2 shown]
	s_delay_alu instid0(VALU_DEP_3) | instskip(SKIP_1) | instid1(VALU_DEP_4)
	v_fma_f32 v69, v11, v39, -v10
	v_mul_f32_e32 v10, v14, v50
	v_fmac_f32_e32 v64, v11, v38
	s_delay_alu instid0(VALU_DEP_4)
	v_fmac_f32_e32 v76, v13, v50
	v_mul_f32_e32 v50, v159, v53
	v_mul_f32_e32 v38, v179, v141
	v_fma_f32 v77, v13, v51, -v10
	scratch_load_b128 v[11:14], off, off offset:900 ; 16-byte Folded Reload
	v_fmac_f32_e32 v50, v158, v52
	v_fmac_f32_e32 v38, v178, v140
	s_waitcnt vmcnt(0)
	v_mul_f32_e32 v10, v12, v42
	v_mul_f32_e32 v78, v12, v43
	;; [unrolled: 1-line block ×4, first 2 shown]
	s_delay_alu instid0(VALU_DEP_4)
	v_fma_f32 v79, v11, v43, -v10
	v_mul_f32_e32 v10, v14, v72
	v_fmac_f32_e32 v78, v11, v42
	v_mul_f32_e32 v11, v225, v154
	v_fmac_f32_e32 v80, v13, v72
	v_fma_f32 v72, v226, v63, -v26
	v_fma_f32 v81, v13, v73, -v10
	v_mul_f32_e32 v10, v165, v102
	v_fma_f32 v27, v224, v155, -v11
	v_mul_f32_e32 v11, v227, v63
	v_dual_sub_f32 v63, v82, v100 :: v_dual_mul_f32 v42, v171, v145
	s_delay_alu instid0(VALU_DEP_4) | instskip(NEXT) | instid1(VALU_DEP_3)
	v_fma_f32 v47, v164, v103, -v10
	v_dual_mul_f32 v10, v167, v48 :: v_dual_fmac_f32 v11, v226, v62
	v_mul_f32_e32 v62, v213, v162
	s_delay_alu instid0(VALU_DEP_4) | instskip(NEXT) | instid1(VALU_DEP_3)
	v_dual_fmac_f32 v42, v170, v144 :: v_dual_mul_f32 v13, v211, v118
	v_fma_f32 v48, v166, v49, -v10
	v_mul_f32_e32 v10, v157, v106
	s_delay_alu instid0(VALU_DEP_4) | instskip(SKIP_2) | instid1(VALU_DEP_4)
	v_fma_f32 v73, v212, v163, -v62
	v_mul_f32_e32 v62, v215, v88
	v_dual_fmac_f32 v12, v208, v152 :: v_dual_fmac_f32 v13, v210, v117
	v_fma_f32 v49, v156, v107, -v10
	v_mul_f32_e32 v10, v159, v52
	v_mul_f32_e32 v52, v149, v112
	;; [unrolled: 1-line block ×4, first 2 shown]
	s_delay_alu instid0(VALU_DEP_4) | instskip(SKIP_4) | instid1(VALU_DEP_4)
	v_fma_f32 v51, v158, v53, -v10
	v_mul_f32_e32 v10, v149, v111
	v_fmac_f32_e32 v52, v148, v111
	v_fmac_f32_e32 v14, v204, v160
	;; [unrolled: 1-line block ×3, first 2 shown]
	v_fma_f32 v53, v148, v112, -v10
	v_mul_f32_e32 v10, v151, v74
	v_mul_f32_e32 v74, v215, v89
	s_delay_alu instid0(VALU_DEP_2) | instskip(SKIP_2) | instid1(VALU_DEP_4)
	v_fma_f32 v55, v150, v75, -v10
	v_mul_f32_e32 v10, v189, v104
	v_fma_f32 v75, v214, v89, -v62
	v_fmac_f32_e32 v74, v214, v88
	s_delay_alu instid0(VALU_DEP_3)
	v_fma_f32 v31, v188, v105, -v10
	scratch_load_b128 v[102:105], off, off offset:956 ; 16-byte Folded Reload
	v_mul_f32_e32 v10, v191, v115
	s_waitcnt vmcnt(0) lgkmcnt(0)
	s_barrier
	buffer_gl0_inv
	v_fma_f32 v36, v190, v116, -v10
	v_mul_f32_e32 v10, v177, v108
	s_delay_alu instid0(VALU_DEP_1) | instskip(SKIP_1) | instid1(VALU_DEP_1)
	v_fma_f32 v37, v176, v109, -v10
	v_mul_f32_e32 v10, v179, v140
	v_fma_f32 v39, v178, v141, -v10
	v_mul_f32_e32 v10, v169, v113
	s_delay_alu instid0(VALU_DEP_1) | instskip(SKIP_1) | instid1(VALU_DEP_1)
	v_fma_f32 v41, v168, v114, -v10
	v_mul_f32_e32 v10, v171, v144
	;; [unrolled: 5-line block ×5, first 2 shown]
	v_fma_f32 v23, v202, v147, -v10
	v_mul_f32_e32 v10, v225, v155
	s_delay_alu instid0(VALU_DEP_1) | instskip(SKIP_3) | instid1(VALU_DEP_3)
	v_fmac_f32_e32 v10, v224, v154
	v_mul_f32_e32 v108, v105, v9
	v_mul_f32_e32 v62, v103, v186
	v_mul_f32_e32 v88, v103, v187
	v_fmac_f32_e32 v108, v104, v8
	v_mul_f32_e32 v8, v105, v8
	s_delay_alu instid0(VALU_DEP_4) | instskip(SKIP_2) | instid1(VALU_DEP_4)
	v_fma_f32 v89, v102, v187, -v62
	v_dual_add_f32 v62, v83, v101 :: v_dual_add_f32 v83, v58, v60
	v_sub_f32_e32 v58, v60, v58
	v_fma_f32 v8, v104, v9, -v8
	v_dual_add_f32 v9, v82, v100 :: v_dual_add_f32 v82, v71, v87
	v_sub_f32_e32 v71, v71, v87
	s_delay_alu instid0(VALU_DEP_4) | instskip(SKIP_1) | instid1(VALU_DEP_4)
	v_sub_f32_e32 v103, v58, v61
	v_fmac_f32_e32 v88, v102, v186
	v_add_f32_e32 v60, v67, v9
	v_add_f32_e32 v70, v82, v62
	v_sub_f32_e32 v100, v82, v62
	v_sub_f32_e32 v101, v86, v82
	v_add_f32_e32 v82, v58, v61
	v_add_f32_e32 v60, v83, v60
	v_dual_sub_f32 v58, v63, v58 :: v_dual_sub_f32 v61, v61, v63
	v_add_f32_e32 v70, v86, v70
	s_delay_alu instid0(VALU_DEP_3)
	v_dual_add_f32 v63, v82, v63 :: v_dual_add_f32 v82, v60, v4
	v_sub_f32_e32 v87, v67, v9
	v_dual_sub_f32 v9, v9, v83 :: v_dual_sub_f32 v62, v62, v86
	v_sub_f32_e32 v67, v83, v67
	v_add_f32_e32 v102, v59, v71
	v_sub_f32_e32 v104, v59, v71
	v_sub_f32_e32 v71, v71, v66
	v_add_f32_e32 v83, v70, v5
	v_mov_b32_e32 v105, v82
	v_sub_f32_e32 v59, v66, v59
	v_add_f32_e32 v66, v102, v66
	v_dual_mul_f32 v4, 0x3f4a47b2, v9 :: v_dual_mul_f32 v5, 0x3f4a47b2, v62
	v_dual_mul_f32 v9, 0x3d64c772, v67 :: v_dual_mul_f32 v62, 0x3d64c772, v101
	v_mul_f32_e32 v86, 0x3f08b237, v103
	v_mul_f32_e32 v102, 0x3f08b237, v104
	v_dual_mul_f32 v103, 0x3f5ff5aa, v61 :: v_dual_mul_f32 v104, 0x3f5ff5aa, v71
	v_dual_fmac_f32 v105, 0xbf955555, v60 :: v_dual_mov_b32 v60, v83
	v_fmamk_f32 v67, v67, 0x3d64c772, v4
	v_fma_f32 v9, 0x3f3bfb3b, v87, -v9
	v_fma_f32 v62, 0x3f3bfb3b, v100, -v62
	;; [unrolled: 1-line block ×3, first 2 shown]
	v_fmac_f32_e32 v60, 0xbf955555, v70
	v_fmamk_f32 v70, v101, 0x3d64c772, v5
	v_fma_f32 v5, 0xbf3bfb3b, v100, -v5
	v_fmamk_f32 v101, v59, 0xbeae86e6, v102
	v_fma_f32 v61, 0xbf5ff5aa, v61, -v86
	v_fma_f32 v102, 0xbf5ff5aa, v71, -v102
	v_dual_fmac_f32 v103, 0x3eae86e6, v58 :: v_dual_fmac_f32 v104, 0x3eae86e6, v59
	v_dual_fmamk_f32 v100, v58, 0xbeae86e6, v86 :: v_dual_add_f32 v9, v9, v105
	v_add_f32_e32 v62, v62, v60
	v_dual_add_f32 v4, v4, v105 :: v_dual_add_f32 v5, v5, v60
	v_dual_fmac_f32 v61, 0xbee1c552, v63 :: v_dual_fmac_f32 v102, 0xbee1c552, v66
	v_dual_fmac_f32 v103, 0xbee1c552, v63 :: v_dual_fmac_f32 v104, 0xbee1c552, v66
	v_dual_add_f32 v58, v67, v105 :: v_dual_add_f32 v59, v70, v60
	v_dual_fmac_f32 v100, 0xbee1c552, v63 :: v_dual_fmac_f32 v101, 0xbee1c552, v66
	s_delay_alu instid0(VALU_DEP_3)
	v_dual_add_f32 v66, v104, v4 :: v_dual_sub_f32 v67, v5, v103
	v_sub_f32_e32 v70, v9, v102
	v_dual_add_f32 v71, v61, v62 :: v_dual_add_f32 v60, v102, v9
	v_dual_sub_f32 v61, v62, v61 :: v_dual_sub_f32 v62, v4, v104
	v_dual_add_f32 v63, v103, v5 :: v_dual_add_f32 v4, v94, v98
	v_add_f32_e32 v5, v95, v99
	v_dual_sub_f32 v9, v94, v98 :: v_dual_sub_f32 v94, v95, v99
	v_dual_add_f32 v95, v91, v96 :: v_dual_add_f32 v98, v93, v97
	v_dual_sub_f32 v91, v91, v96 :: v_dual_add_f32 v96, v84, v90
	v_sub_f32_e32 v84, v90, v84
	s_delay_alu instid0(VALU_DEP_3) | instskip(SKIP_3) | instid1(VALU_DEP_4)
	v_dual_add_f32 v90, v95, v4 :: v_dual_sub_f32 v93, v93, v97
	v_add_f32_e32 v97, v85, v92
	v_sub_f32_e32 v85, v92, v85
	v_add_f32_e32 v92, v98, v5
	v_add_f32_e32 v90, v96, v90
	v_sub_f32_e32 v103, v84, v91
	v_sub_f32_e32 v99, v95, v4
	;; [unrolled: 1-line block ×3, first 2 shown]
	v_add_f32_e32 v92, v97, v92
	v_dual_add_f32 v114, v90, v6 :: v_dual_sub_f32 v95, v96, v95
	v_add_f32_e32 v102, v85, v93
	v_sub_f32_e32 v104, v85, v93
	v_sub_f32_e32 v93, v93, v94
	v_add_f32_e32 v115, v92, v7
	v_dual_mul_f32 v96, 0x3f08b237, v103 :: v_dual_mov_b32 v103, v114
	v_dual_add_f32 v86, v101, v58 :: v_dual_sub_f32 v87, v59, v100
	v_dual_sub_f32 v58, v58, v101 :: v_dual_add_f32 v59, v100, v59
	v_sub_f32_e32 v100, v98, v5
	v_sub_f32_e32 v5, v5, v97
	v_dual_sub_f32 v98, v97, v98 :: v_dual_add_f32 v101, v84, v91
	v_sub_f32_e32 v85, v94, v85
	v_dual_sub_f32 v91, v91, v9 :: v_dual_add_f32 v94, v102, v94
	v_mul_f32_e32 v4, 0x3f4a47b2, v4
	v_mul_f32_e32 v102, 0x3f5ff5aa, v93
	v_dual_fmac_f32 v103, 0xbf955555, v90 :: v_dual_mov_b32 v90, v115
	v_sub_f32_e32 v84, v9, v84
	v_add_f32_e32 v9, v101, v9
	v_mul_f32_e32 v5, 0x3f4a47b2, v5
	v_dual_mul_f32 v6, 0x3d64c772, v95 :: v_dual_mul_f32 v7, 0x3d64c772, v98
	v_mul_f32_e32 v97, 0x3f08b237, v104
	v_mul_f32_e32 v101, 0x3f5ff5aa, v91
	v_fmac_f32_e32 v90, 0xbf955555, v92
	v_fmamk_f32 v92, v95, 0x3d64c772, v4
	v_fma_f32 v4, 0xbf3bfb3b, v99, -v4
	v_fmac_f32_e32 v102, 0x3eae86e6, v85
	v_fmamk_f32 v95, v98, 0x3d64c772, v5
	v_fma_f32 v6, 0x3f3bfb3b, v99, -v6
	v_fma_f32 v7, 0x3f3bfb3b, v100, -v7
	;; [unrolled: 1-line block ×3, first 2 shown]
	v_dual_fmamk_f32 v100, v84, 0xbeae86e6, v96 :: v_dual_fmamk_f32 v109, v85, 0xbeae86e6, v97
	v_fma_f32 v91, 0xbf5ff5aa, v91, -v96
	v_fma_f32 v93, 0xbf5ff5aa, v93, -v97
	v_dual_fmac_f32 v101, 0x3eae86e6, v84 :: v_dual_add_f32 v4, v4, v103
	v_fmac_f32_e32 v102, 0xbee1c552, v94
	v_dual_add_f32 v6, v6, v103 :: v_dual_add_f32 v7, v7, v90
	v_dual_add_f32 v5, v5, v90 :: v_dual_fmac_f32 v100, 0xbee1c552, v9
	v_fmac_f32_e32 v109, 0xbee1c552, v94
	v_fmac_f32_e32 v91, 0xbee1c552, v9
	;; [unrolled: 1-line block ×3, first 2 shown]
	v_dual_fmac_f32 v101, 0xbee1c552, v9 :: v_dual_add_f32 v112, v102, v4
	v_sub_f32_e32 v94, v4, v102
	v_dual_add_f32 v4, v56, v80 :: v_dual_add_f32 v9, v57, v78
	v_dual_add_f32 v84, v92, v103 :: v_dual_add_f32 v85, v95, v90
	s_delay_alu instid0(VALU_DEP_4)
	v_sub_f32_e32 v113, v5, v101
	v_dual_sub_f32 v98, v6, v93 :: v_dual_add_f32 v99, v91, v7
	v_dual_add_f32 v104, v93, v6 :: v_dual_sub_f32 v105, v7, v91
	v_add_f32_e32 v95, v101, v5
	v_dual_add_f32 v5, v65, v81 :: v_dual_sub_f32 v6, v56, v80
	v_dual_sub_f32 v7, v65, v81 :: v_dual_add_f32 v56, v68, v79
	v_sub_f32_e32 v57, v57, v78
	v_sub_f32_e32 v65, v68, v79
	v_add_f32_e32 v68, v64, v76
	v_add_f32_e32 v78, v69, v77
	v_dual_sub_f32 v64, v76, v64 :: v_dual_sub_f32 v69, v77, v69
	v_add_f32_e32 v76, v9, v4
	v_add_f32_e32 v106, v109, v84
	v_sub_f32_e32 v96, v84, v109
	v_add_f32_e32 v77, v56, v5
	v_sub_f32_e32 v79, v9, v4
	v_sub_f32_e32 v4, v4, v68
	;; [unrolled: 1-line block ×3, first 2 shown]
	v_add_f32_e32 v84, v69, v65
	v_add_f32_e32 v68, v68, v76
	;; [unrolled: 1-line block ×3, first 2 shown]
	v_sub_f32_e32 v91, v69, v65
	v_sub_f32_e32 v69, v7, v69
	v_dual_sub_f32 v65, v65, v7 :: v_dual_add_f32 v76, v78, v77
	v_add_f32_e32 v7, v84, v7
	v_add_f32_e32 v84, v68, v0
	v_sub_f32_e32 v107, v85, v100
	v_add_f32_e32 v97, v100, v85
	v_dual_sub_f32 v80, v56, v5 :: v_dual_sub_f32 v5, v5, v78
	v_sub_f32_e32 v56, v78, v56
	v_sub_f32_e32 v90, v64, v57
	v_dual_sub_f32 v64, v6, v64 :: v_dual_sub_f32 v57, v57, v6
	v_dual_add_f32 v6, v81, v6 :: v_dual_add_f32 v85, v76, v1
	v_mul_f32_e32 v0, 0x3f4a47b2, v4
	v_mul_f32_e32 v78, 0x3f08b237, v91
	;; [unrolled: 1-line block ×3, first 2 shown]
	v_mov_b32_e32 v81, v84
	v_mul_f32_e32 v1, 0x3f4a47b2, v5
	v_dual_mul_f32 v4, 0x3d64c772, v9 :: v_dual_mul_f32 v5, 0x3d64c772, v56
	v_mul_f32_e32 v77, 0x3f08b237, v90
	v_mul_f32_e32 v90, 0x3f5ff5aa, v57
	v_dual_fmac_f32 v81, 0xbf955555, v68 :: v_dual_mov_b32 v68, v85
	v_fmamk_f32 v9, v9, 0x3d64c772, v0
	v_fma_f32 v0, 0xbf3bfb3b, v79, -v0
	v_fmac_f32_e32 v91, 0x3eae86e6, v69
	v_fmamk_f32 v56, v56, 0x3d64c772, v1
	v_fmac_f32_e32 v68, 0xbf955555, v76
	v_fma_f32 v4, 0x3f3bfb3b, v79, -v4
	v_fma_f32 v5, 0x3f3bfb3b, v80, -v5
	;; [unrolled: 1-line block ×3, first 2 shown]
	v_fmamk_f32 v100, v64, 0xbeae86e6, v77
	v_fmamk_f32 v76, v69, 0xbeae86e6, v78
	v_fma_f32 v57, 0xbf5ff5aa, v57, -v77
	v_fma_f32 v65, 0xbf5ff5aa, v65, -v78
	v_fmac_f32_e32 v90, 0x3eae86e6, v64
	v_dual_add_f32 v0, v0, v81 :: v_dual_fmac_f32 v91, 0xbee1c552, v7
	v_dual_add_f32 v9, v9, v81 :: v_dual_add_f32 v56, v56, v68
	v_dual_add_f32 v4, v4, v81 :: v_dual_add_f32 v5, v5, v68
	v_dual_add_f32 v1, v1, v68 :: v_dual_fmac_f32 v100, 0xbee1c552, v6
	v_dual_fmac_f32 v76, 0xbee1c552, v7 :: v_dual_fmac_f32 v57, 0xbee1c552, v6
	v_dual_fmac_f32 v65, 0xbee1c552, v7 :: v_dual_fmac_f32 v90, 0xbee1c552, v6
	v_add_f32_e32 v78, v91, v0
	v_sub_f32_e32 v68, v0, v91
	v_add_f32_e32 v0, v44, v54
	v_add_f32_e32 v6, v45, v52
	v_dual_add_f32 v92, v76, v9 :: v_dual_sub_f32 v79, v1, v90
	v_sub_f32_e32 v80, v4, v65
	v_add_f32_e32 v81, v57, v5
	v_add_f32_e32 v64, v65, v4
	v_sub_f32_e32 v65, v5, v57
	v_dual_add_f32 v69, v90, v1 :: v_dual_sub_f32 v76, v9, v76
	v_dual_add_f32 v1, v47, v55 :: v_dual_sub_f32 v4, v44, v54
	v_sub_f32_e32 v5, v47, v55
	v_add_f32_e32 v7, v48, v53
	v_dual_sub_f32 v9, v45, v52 :: v_dual_sub_f32 v44, v48, v53
	v_add_f32_e32 v45, v46, v50
	v_dual_add_f32 v47, v49, v51 :: v_dual_sub_f32 v48, v51, v49
	v_add_f32_e32 v49, v6, v0
	v_sub_f32_e32 v46, v50, v46
	v_dual_add_f32 v50, v7, v1 :: v_dual_sub_f32 v51, v6, v0
	v_sub_f32_e32 v0, v0, v45
	v_sub_f32_e32 v6, v45, v6
	v_dual_add_f32 v54, v48, v44 :: v_dual_add_f32 v45, v45, v49
	v_dual_sub_f32 v52, v7, v1 :: v_dual_sub_f32 v1, v1, v47
	v_sub_f32_e32 v7, v47, v7
	v_add_f32_e32 v53, v46, v9
	v_sub_f32_e32 v57, v48, v44
	v_sub_f32_e32 v48, v5, v48
	v_dual_sub_f32 v44, v44, v5 :: v_dual_add_f32 v47, v47, v50
	v_dual_add_f32 v5, v54, v5 :: v_dual_add_f32 v54, v45, v2
	v_sub_f32_e32 v93, v56, v100
	v_dual_add_f32 v77, v100, v56 :: v_dual_sub_f32 v56, v46, v9
	v_dual_sub_f32 v46, v4, v46 :: v_dual_sub_f32 v9, v9, v4
	v_dual_add_f32 v4, v53, v4 :: v_dual_add_f32 v55, v47, v3
	v_mul_f32_e32 v0, 0x3f4a47b2, v0
	v_mul_f32_e32 v91, 0x3f5ff5aa, v44
	v_mov_b32_e32 v53, v54
	v_mul_f32_e32 v1, 0x3f4a47b2, v1
	v_dual_mul_f32 v2, 0x3d64c772, v6 :: v_dual_mul_f32 v3, 0x3d64c772, v7
	v_dual_mul_f32 v49, 0x3f08b237, v56 :: v_dual_mul_f32 v50, 0x3f08b237, v57
	v_mul_f32_e32 v90, 0x3f5ff5aa, v9
	v_fmac_f32_e32 v53, 0xbf955555, v45
	v_dual_mov_b32 v45, v55 :: v_dual_fmamk_f32 v6, v6, 0x3d64c772, v0
	v_fma_f32 v0, 0xbf3bfb3b, v51, -v0
	v_fmac_f32_e32 v91, 0x3eae86e6, v48
	v_fmamk_f32 v7, v7, 0x3d64c772, v1
	s_delay_alu instid0(VALU_DEP_4)
	v_fmac_f32_e32 v45, 0xbf955555, v47
	v_fma_f32 v3, 0x3f3bfb3b, v52, -v3
	v_fma_f32 v1, 0xbf3bfb3b, v52, -v1
	v_dual_fmamk_f32 v100, v46, 0xbeae86e6, v49 :: v_dual_fmamk_f32 v101, v48, 0xbeae86e6, v50
	v_fma_f32 v9, 0xbf5ff5aa, v9, -v49
	v_fmac_f32_e32 v90, 0x3eae86e6, v46
	v_add_f32_e32 v0, v0, v53
	v_fmac_f32_e32 v91, 0xbee1c552, v5
	v_fma_f32 v2, 0x3f3bfb3b, v51, -v2
	v_fma_f32 v44, 0xbf5ff5aa, v44, -v50
	v_add_f32_e32 v6, v6, v53
	v_add_f32_e32 v7, v7, v45
	v_add_f32_e32 v3, v3, v45
	v_dual_add_f32 v1, v1, v45 :: v_dual_fmac_f32 v100, 0xbee1c552, v4
	v_fmac_f32_e32 v101, 0xbee1c552, v5
	v_fmac_f32_e32 v9, 0xbee1c552, v4
	;; [unrolled: 1-line block ×3, first 2 shown]
	v_add_f32_e32 v50, v91, v0
	v_sub_f32_e32 v46, v0, v91
	v_add_f32_e32 v0, v24, v42
	v_add_f32_e32 v4, v25, v40
	;; [unrolled: 1-line block ×3, first 2 shown]
	v_fmac_f32_e32 v44, 0xbee1c552, v5
	v_dual_add_f32 v56, v101, v6 :: v_dual_sub_f32 v57, v7, v100
	v_sub_f32_e32 v51, v1, v90
	v_add_f32_e32 v53, v9, v3
	v_sub_f32_e32 v45, v3, v9
	v_add_f32_e32 v47, v90, v1
	v_dual_sub_f32 v48, v6, v101 :: v_dual_add_f32 v49, v100, v7
	v_add_f32_e32 v1, v31, v43
	v_sub_f32_e32 v3, v31, v43
	v_dual_add_f32 v5, v36, v41 :: v_dual_sub_f32 v6, v25, v40
	v_sub_f32_e32 v7, v36, v41
	v_add_f32_e32 v9, v30, v38
	v_dual_sub_f32 v25, v38, v30 :: v_dual_sub_f32 v30, v39, v37
	v_add_f32_e32 v31, v4, v0
	v_sub_f32_e32 v52, v2, v44
	v_add_f32_e32 v44, v44, v2
	v_sub_f32_e32 v2, v24, v42
	v_add_f32_e32 v24, v37, v39
	v_dual_add_f32 v36, v5, v1 :: v_dual_sub_f32 v37, v4, v0
	v_sub_f32_e32 v0, v0, v9
	v_sub_f32_e32 v4, v9, v4
	v_add_f32_e32 v40, v30, v7
	v_add_f32_e32 v9, v9, v31
	v_sub_f32_e32 v38, v5, v1
	v_sub_f32_e32 v1, v1, v24
	;; [unrolled: 1-line block ×3, first 2 shown]
	v_add_f32_e32 v39, v25, v6
	v_dual_sub_f32 v43, v30, v7 :: v_dual_sub_f32 v30, v3, v30
	v_dual_sub_f32 v7, v7, v3 :: v_dual_add_f32 v24, v24, v36
	v_dual_add_f32 v3, v40, v3 :: v_dual_add_f32 v40, v9, v32
	v_dual_sub_f32 v42, v25, v6 :: v_dual_sub_f32 v25, v2, v25
	v_sub_f32_e32 v6, v6, v2
	s_delay_alu instid0(VALU_DEP_4) | instskip(NEXT) | instid1(VALU_DEP_4)
	v_dual_add_f32 v2, v39, v2 :: v_dual_add_f32 v41, v24, v33
	v_dual_mov_b32 v39, v40 :: v_dual_mul_f32 v0, 0x3f4a47b2, v0
	v_dual_mul_f32 v31, 0x3d64c772, v4 :: v_dual_mul_f32 v32, 0x3d64c772, v5
	v_mul_f32_e32 v36, 0x3f08b237, v43
	v_mul_f32_e32 v91, 0x3f5ff5aa, v7
	s_delay_alu instid0(VALU_DEP_4)
	v_fmac_f32_e32 v39, 0xbf955555, v9
	v_mov_b32_e32 v9, v41
	v_mul_f32_e32 v1, 0x3f4a47b2, v1
	v_mul_f32_e32 v33, 0x3f08b237, v42
	;; [unrolled: 1-line block ×3, first 2 shown]
	v_fmamk_f32 v4, v4, 0x3d64c772, v0
	v_fmac_f32_e32 v9, 0xbf955555, v24
	v_fma_f32 v24, 0x3f3bfb3b, v37, -v31
	v_fma_f32 v31, 0x3f3bfb3b, v38, -v32
	;; [unrolled: 1-line block ×3, first 2 shown]
	v_fmamk_f32 v32, v30, 0xbeae86e6, v36
	v_fmac_f32_e32 v91, 0x3eae86e6, v30
	v_fmamk_f32 v5, v5, 0x3d64c772, v1
	v_fma_f32 v1, 0xbf3bfb3b, v38, -v1
	v_fmamk_f32 v100, v25, 0xbeae86e6, v33
	v_fmac_f32_e32 v90, 0x3eae86e6, v25
	v_add_f32_e32 v4, v4, v39
	v_add_f32_e32 v0, v0, v39
	v_fmac_f32_e32 v32, 0xbee1c552, v3
	v_fmac_f32_e32 v91, 0xbee1c552, v3
	v_fma_f32 v6, 0xbf5ff5aa, v6, -v33
	v_fma_f32 v7, 0xbf5ff5aa, v7, -v36
	v_add_f32_e32 v5, v5, v9
	v_dual_add_f32 v1, v1, v9 :: v_dual_fmac_f32 v100, 0xbee1c552, v2
	v_fmac_f32_e32 v90, 0xbee1c552, v2
	v_add_f32_e32 v42, v32, v4
	v_add_f32_e32 v36, v91, v0
	v_sub_f32_e32 v30, v0, v91
	v_sub_f32_e32 v32, v4, v32
	v_add_f32_e32 v0, v12, v22
	v_add_f32_e32 v4, v13, v20
	v_dual_add_f32 v24, v24, v39 :: v_dual_add_f32 v25, v31, v9
	v_dual_fmac_f32 v6, 0xbee1c552, v2 :: v_dual_fmac_f32 v7, 0xbee1c552, v3
	v_sub_f32_e32 v43, v5, v100
	v_sub_f32_e32 v37, v1, v90
	v_add_f32_e32 v31, v90, v1
	v_add_f32_e32 v33, v100, v5
	;; [unrolled: 1-line block ×3, first 2 shown]
	v_sub_f32_e32 v3, v15, v23
	v_add_f32_e32 v5, v16, v21
	v_add_f32_e32 v9, v14, v18
	v_add_f32_e32 v15, v4, v0
	v_dual_sub_f32 v38, v24, v7 :: v_dual_add_f32 v39, v6, v25
	v_dual_add_f32 v24, v7, v24 :: v_dual_sub_f32 v25, v25, v6
	v_sub_f32_e32 v2, v12, v22
	v_dual_sub_f32 v6, v13, v20 :: v_dual_sub_f32 v7, v16, v21
	v_dual_add_f32 v12, v17, v19 :: v_dual_sub_f32 v13, v18, v14
	v_sub_f32_e32 v14, v19, v17
	v_dual_add_f32 v16, v5, v1 :: v_dual_sub_f32 v17, v4, v0
	v_sub_f32_e32 v0, v0, v9
	v_sub_f32_e32 v4, v9, v4
	v_add_f32_e32 v9, v9, v15
	v_sub_f32_e32 v18, v5, v1
	v_sub_f32_e32 v1, v1, v12
	v_dual_sub_f32 v5, v12, v5 :: v_dual_add_f32 v20, v14, v7
	v_dual_sub_f32 v21, v13, v6 :: v_dual_sub_f32 v22, v14, v7
	v_dual_add_f32 v15, v12, v16 :: v_dual_add_f32 v12, v9, v34
	v_add_f32_e32 v19, v13, v6
	v_dual_sub_f32 v23, v2, v13 :: v_dual_sub_f32 v14, v3, v14
	v_sub_f32_e32 v7, v7, v3
	v_add_f32_e32 v3, v20, v3
	v_dual_add_f32 v13, v15, v35 :: v_dual_mul_f32 v20, 0x3f08b237, v21
	v_dual_mul_f32 v21, 0x3f08b237, v22 :: v_dual_mov_b32 v22, v12
	v_sub_f32_e32 v6, v6, v2
	v_add_f32_e32 v2, v19, v2
	v_dual_mul_f32 v0, 0x3f4a47b2, v0 :: v_dual_mul_f32 v1, 0x3f4a47b2, v1
	v_dual_mul_f32 v16, 0x3d64c772, v4 :: v_dual_mul_f32 v19, 0x3d64c772, v5
	v_mul_f32_e32 v91, 0x3f5ff5aa, v7
	v_dual_fmac_f32 v22, 0xbf955555, v9 :: v_dual_mov_b32 v9, v13
	v_mul_f32_e32 v90, 0x3f5ff5aa, v6
	v_dual_fmamk_f32 v4, v4, 0x3d64c772, v0 :: v_dual_fmamk_f32 v5, v5, 0x3d64c772, v1
	v_fma_f32 v0, 0xbf3bfb3b, v17, -v0
	s_delay_alu instid0(VALU_DEP_4)
	v_fmac_f32_e32 v9, 0xbf955555, v15
	v_fma_f32 v15, 0x3f3bfb3b, v17, -v16
	v_fma_f32 v16, 0x3f3bfb3b, v18, -v19
	;; [unrolled: 1-line block ×3, first 2 shown]
	v_fmamk_f32 v18, v14, 0xbeae86e6, v21
	v_fmac_f32_e32 v91, 0x3eae86e6, v14
	v_fmamk_f32 v19, v23, 0xbeae86e6, v20
	v_fma_f32 v6, 0xbf5ff5aa, v6, -v20
	v_fmac_f32_e32 v90, 0x3eae86e6, v23
	v_add_f32_e32 v4, v4, v22
	v_add_f32_e32 v0, v0, v22
	v_fmac_f32_e32 v18, 0xbee1c552, v3
	v_fmac_f32_e32 v91, 0xbee1c552, v3
	v_fma_f32 v7, 0xbf5ff5aa, v7, -v21
	v_dual_add_f32 v5, v5, v9 :: v_dual_add_f32 v14, v15, v22
	v_add_f32_e32 v15, v16, v9
	v_add_f32_e32 v1, v1, v9
	v_fmac_f32_e32 v19, 0xbee1c552, v2
	v_fmac_f32_e32 v6, 0xbee1c552, v2
	;; [unrolled: 1-line block ×3, first 2 shown]
	v_add_f32_e32 v34, v18, v4
	v_add_f32_e32 v20, v91, v0
	v_sub_f32_e32 v16, v0, v91
	v_sub_f32_e32 v18, v4, v18
	v_add_f32_e32 v0, v10, v108
	v_dual_add_f32 v4, v11, v88 :: v_dual_fmac_f32 v7, 0xbee1c552, v3
	v_sub_f32_e32 v35, v5, v19
	v_sub_f32_e32 v21, v1, v90
	v_add_f32_e32 v23, v6, v15
	v_sub_f32_e32 v15, v15, v6
	v_add_f32_e32 v17, v90, v1
	v_add_f32_e32 v19, v19, v5
	;; [unrolled: 1-line block ×3, first 2 shown]
	v_sub_f32_e32 v2, v10, v108
	v_sub_f32_e32 v3, v27, v8
	v_dual_add_f32 v5, v72, v89 :: v_dual_sub_f32 v6, v11, v88
	v_add_f32_e32 v8, v26, v74
	v_sub_f32_e32 v10, v74, v26
	v_add_f32_e32 v26, v4, v0
	v_sub_f32_e32 v22, v14, v7
	v_dual_add_f32 v14, v7, v14 :: v_dual_sub_f32 v7, v72, v89
	v_add_f32_e32 v9, v73, v75
	v_sub_f32_e32 v11, v75, v73
	v_dual_add_f32 v27, v5, v1 :: v_dual_sub_f32 v72, v4, v0
	v_sub_f32_e32 v0, v0, v8
	v_sub_f32_e32 v4, v8, v4
	v_add_f32_e32 v74, v10, v6
	v_dual_add_f32 v8, v8, v26 :: v_dual_sub_f32 v73, v5, v1
	v_sub_f32_e32 v1, v1, v9
	v_sub_f32_e32 v5, v9, v5
	v_dual_add_f32 v75, v11, v7 :: v_dual_sub_f32 v88, v10, v6
	v_sub_f32_e32 v10, v2, v10
	v_dual_sub_f32 v6, v6, v2 :: v_dual_add_f32 v9, v9, v27
	v_add_f32_e32 v26, v74, v2
	v_dual_add_f32 v2, v8, v28 :: v_dual_sub_f32 v89, v11, v7
	v_sub_f32_e32 v11, v3, v11
	v_sub_f32_e32 v7, v7, v3
	v_add_f32_e32 v27, v75, v3
	s_delay_alu instid0(VALU_DEP_4) | instskip(SKIP_3) | instid1(VALU_DEP_4)
	v_dual_add_f32 v3, v9, v29 :: v_dual_mov_b32 v90, v2
	v_mul_f32_e32 v1, 0x3f4a47b2, v1
	v_dual_mul_f32 v28, 0x3d64c772, v4 :: v_dual_mul_f32 v29, 0x3d64c772, v5
	v_mul_f32_e32 v74, 0x3f08b237, v88
	v_fmac_f32_e32 v90, 0xbf955555, v8
	s_delay_alu instid0(VALU_DEP_4)
	v_dual_mov_b32 v8, v3 :: v_dual_fmamk_f32 v5, v5, 0x3d64c772, v1
	ds_store_2addr_b64 v110, v[82:83], v[86:87] offset1:49
	ds_store_2addr_b64 v110, v[66:67], v[70:71] offset0:98 offset1:147
	ds_store_2addr_b64 v110, v[60:61], v[62:63] offset0:196 offset1:245
	;; [unrolled: 1-line block ×6, first 2 shown]
	v_mul_f32_e32 v88, 0x3f5ff5aa, v6
	v_fmac_f32_e32 v8, 0xbf955555, v9
	v_fma_f32 v9, 0x3f3bfb3b, v72, -v28
	v_fma_f32 v28, 0x3f3bfb3b, v73, -v29
	v_fmamk_f32 v29, v10, 0xbeae86e6, v74
	v_fma_f32 v6, 0xbf5ff5aa, v6, -v74
	v_add_f32_e32 v74, v5, v8
	v_mul_f32_e32 v0, 0x3f4a47b2, v0
	v_add_f32_e32 v5, v28, v8
	scratch_load_b32 v28, off, off offset:436 ; 4-byte Folded Reload
	v_mul_f32_e32 v75, 0x3f08b237, v89
	v_mul_f32_e32 v89, 0x3f5ff5aa, v7
	v_fmamk_f32 v4, v4, 0x3d64c772, v0
	v_fma_f32 v0, 0xbf3bfb3b, v72, -v0
	v_fma_f32 v1, 0xbf3bfb3b, v73, -v1
	v_fmamk_f32 v72, v11, 0xbeae86e6, v75
	v_fma_f32 v7, 0xbf5ff5aa, v7, -v75
	v_dual_fmac_f32 v88, 0x3eae86e6, v10 :: v_dual_fmac_f32 v89, 0x3eae86e6, v11
	v_add_f32_e32 v73, v4, v90
	s_delay_alu instid0(VALU_DEP_4)
	v_dual_fmac_f32 v29, 0xbee1c552, v26 :: v_dual_fmac_f32 v72, 0xbee1c552, v27
	v_add_f32_e32 v4, v9, v90
	v_dual_add_f32 v0, v0, v90 :: v_dual_add_f32 v1, v1, v8
	v_dual_fmac_f32 v6, 0xbee1c552, v26 :: v_dual_fmac_f32 v7, 0xbee1c552, v27
	v_dual_fmac_f32 v88, 0xbee1c552, v26 :: v_dual_fmac_f32 v89, 0xbee1c552, v27
	v_add_f32_e32 v26, v72, v73
	s_delay_alu instid0(VALU_DEP_3) | instskip(NEXT) | instid1(VALU_DEP_3)
	v_dual_sub_f32 v27, v74, v29 :: v_dual_sub_f32 v10, v4, v7
	v_sub_f32_e32 v9, v1, v88
	s_delay_alu instid0(VALU_DEP_4)
	v_dual_add_f32 v8, v89, v0 :: v_dual_add_f32 v11, v6, v5
	v_dual_add_f32 v4, v7, v4 :: v_dual_sub_f32 v5, v5, v6
	v_sub_f32_e32 v6, v0, v89
	v_dual_add_f32 v7, v88, v1 :: v_dual_sub_f32 v0, v73, v72
	v_add_f32_e32 v1, v29, v74
	s_waitcnt vmcnt(0)
	ds_store_2addr_b64 v28, v[84:85], v[92:93] offset0:174 offset1:223
	scratch_load_b32 v28, off, off offset:492 ; 4-byte Folded Reload
	s_waitcnt vmcnt(0)
	ds_store_2addr_b64 v28, v[78:79], v[80:81] offset0:16 offset1:65
	ds_store_2addr_b64 v28, v[64:65], v[68:69] offset0:114 offset1:163
	scratch_load_b32 v28, off, off offset:440 ; 4-byte Folded Reload
	s_waitcnt vmcnt(0)
	ds_store_b64 v28, v[76:77] offset:7840
	scratch_load_b32 v28, off, off offset:500 ; 4-byte Folded Reload
	s_waitcnt vmcnt(0)
	ds_store_2addr_b64 v28, v[54:55], v[56:57] offset0:5 offset1:54
	ds_store_2addr_b64 v28, v[50:51], v[52:53] offset0:103 offset1:152
	;; [unrolled: 1-line block ×3, first 2 shown]
	scratch_load_b32 v28, off, off offset:432 ; 4-byte Folded Reload
	s_waitcnt vmcnt(0)
	ds_store_b64 v28, v[48:49] offset:10584
	scratch_load_b32 v28, off, off offset:496 ; 4-byte Folded Reload
	s_waitcnt vmcnt(0)
	ds_store_2addr_b64 v28, v[40:41], v[42:43] offset0:92 offset1:141
	ds_store_2addr_b64 v28, v[36:37], v[38:39] offset0:190 offset1:239
	scratch_load_b32 v28, off, off offset:408 ; 4-byte Folded Reload
	s_waitcnt vmcnt(0)
	ds_store_2addr_b64 v28, v[24:25], v[30:31] offset0:32 offset1:81
	scratch_load_b32 v24, off, off offset:404 ; 4-byte Folded Reload
	s_waitcnt vmcnt(0)
	ds_store_b64 v24, v[32:33] offset:13328
	scratch_load_b32 v24, off, off offset:412 ; 4-byte Folded Reload
	s_waitcnt vmcnt(0)
	ds_store_2addr_b64 v24, v[12:13], v[34:35] offset0:179 offset1:228
	scratch_load_b32 v12, off, off offset:420 ; 4-byte Folded Reload
	s_waitcnt vmcnt(0)
	ds_store_2addr_b64 v12, v[20:21], v[22:23] offset0:21 offset1:70
	ds_store_2addr_b64 v12, v[14:15], v[16:17] offset0:119 offset1:168
	scratch_load_b32 v12, off, off offset:416 ; 4-byte Folded Reload
	s_waitcnt vmcnt(0)
	ds_store_b64 v12, v[18:19] offset:16072
	scratch_load_b32 v12, off, off offset:428 ; 4-byte Folded Reload
	s_waitcnt vmcnt(0)
	ds_store_2addr_b64 v12, v[2:3], v[26:27] offset0:10 offset1:59
	ds_store_2addr_b64 v12, v[8:9], v[10:11] offset0:108 offset1:157
	ds_store_2addr_b64 v12, v[4:5], v[6:7] offset0:206 offset1:255
	scratch_load_b32 v2, off, off offset:424 ; 4-byte Folded Reload
	s_waitcnt vmcnt(0)
	ds_store_b64 v2, v[0:1] offset:18816
	s_waitcnt lgkmcnt(0)
	s_barrier
	buffer_gl0_inv
	ds_load_2addr_b64 v[12:15], v110 offset1:49
	ds_load_2addr_b64 v[0:3], v194 offset0:38 offset1:87
	ds_load_2addr_b64 v[24:27], v196 offset0:174 offset1:223
	;; [unrolled: 1-line block ×23, first 2 shown]
	ds_load_b64 v[16:17], v110 offset:18816
	s_clause 0x1
	scratch_load_b128 v[28:31], off, off offset:444
	scratch_load_b128 v[58:61], off, off offset:504
	s_waitcnt lgkmcnt(2)
	v_mul_f32_e32 v73, v133, v115
	s_delay_alu instid0(VALU_DEP_1) | instskip(SKIP_2) | instid1(VALU_DEP_1)
	v_fma_f32 v73, v132, v116, -v73
	s_waitcnt vmcnt(1)
	v_dual_mul_f32 v21, v29, v3 :: v_dual_mul_f32 v18, v31, v25
	v_fmac_f32_e32 v21, v28, v2
	v_mul_f32_e32 v2, v29, v2
	s_delay_alu instid0(VALU_DEP_3) | instskip(NEXT) | instid1(VALU_DEP_2)
	v_fmac_f32_e32 v18, v30, v24
	v_fma_f32 v23, v28, v3, -v2
	v_mul_f32_e32 v2, v31, v24
	s_delay_alu instid0(VALU_DEP_1)
	v_fma_f32 v20, v30, v25, -v2
	scratch_load_b128 v[28:31], off, off offset:460 ; 16-byte Folded Reload
	s_waitcnt vmcnt(0)
	v_mul_f32_e32 v2, v29, v93
	v_mul_f32_e32 v3, v29, v92
	;; [unrolled: 1-line block ×4, first 2 shown]
	s_delay_alu instid0(VALU_DEP_4) | instskip(NEXT) | instid1(VALU_DEP_4)
	v_fmac_f32_e32 v2, v28, v92
	v_fma_f32 v3, v28, v93, -v3
	s_delay_alu instid0(VALU_DEP_4) | instskip(NEXT) | instid1(VALU_DEP_4)
	v_fmac_f32_e32 v19, v30, v32
	v_fma_f32 v22, v30, v33, -v22
	scratch_load_b128 v[28:31], off, off offset:476 ; 16-byte Folded Reload
	v_mul_f32_e32 v92, v175, v95
	v_mul_f32_e32 v93, v175, v94
	s_delay_alu instid0(VALU_DEP_2) | instskip(NEXT) | instid1(VALU_DEP_2)
	v_fmac_f32_e32 v92, v174, v94
	v_fma_f32 v93, v174, v95, -v93
	s_waitcnt vmcnt(0)
	v_mul_f32_e32 v24, v29, v97
	v_dual_mul_f32 v25, v29, v96 :: v_dual_mul_f32 v74, v31, v37
	s_delay_alu instid0(VALU_DEP_2) | instskip(NEXT) | instid1(VALU_DEP_2)
	v_fmac_f32_e32 v24, v28, v96
	v_fma_f32 v25, v28, v97, -v25
	v_mul_f32_e32 v28, v31, v36
	s_delay_alu instid0(VALU_DEP_4) | instskip(SKIP_1) | instid1(VALU_DEP_3)
	v_dual_mul_f32 v31, v59, v41 :: v_dual_fmac_f32 v74, v30, v36
	v_mul_f32_e32 v96, v131, v109
	v_fma_f32 v75, v30, v37, -v28
	v_mul_f32_e32 v28, v59, v40
	s_delay_alu instid0(VALU_DEP_4) | instskip(NEXT) | instid1(VALU_DEP_4)
	v_fmac_f32_e32 v31, v58, v40
	v_fmac_f32_e32 v96, v130, v108
	s_delay_alu instid0(VALU_DEP_3) | instskip(SKIP_1) | instid1(VALU_DEP_1)
	v_fma_f32 v33, v58, v41, -v28
	v_mul_f32_e32 v28, v61, v27
	v_fmac_f32_e32 v28, v60, v26
	v_mul_f32_e32 v26, v61, v26
	s_delay_alu instid0(VALU_DEP_1)
	v_fma_f32 v30, v60, v27, -v26
	scratch_load_b128 v[58:61], off, off offset:520 ; 16-byte Folded Reload
	s_waitcnt vmcnt(0)
	v_mul_f32_e32 v26, v59, v45
	v_mul_f32_e32 v27, v59, v44
	;; [unrolled: 1-line block ×4, first 2 shown]
	s_delay_alu instid0(VALU_DEP_4) | instskip(NEXT) | instid1(VALU_DEP_4)
	v_fmac_f32_e32 v26, v58, v44
	v_fma_f32 v27, v58, v45, -v27
	s_delay_alu instid0(VALU_DEP_4) | instskip(NEXT) | instid1(VALU_DEP_4)
	v_fmac_f32_e32 v29, v60, v34
	v_fma_f32 v32, v60, v35, -v32
	scratch_load_b128 v[58:61], off, off offset:584 ; 16-byte Folded Reload
	s_waitcnt vmcnt(0)
	v_mul_f32_e32 v34, v59, v48
	v_mul_f32_e32 v40, v59, v49
	;; [unrolled: 1-line block ×3, first 2 shown]
	s_delay_alu instid0(VALU_DEP_3) | instskip(SKIP_1) | instid1(VALU_DEP_4)
	v_fma_f32 v41, v58, v49, -v34
	v_mul_f32_e32 v34, v61, v38
	v_fmac_f32_e32 v40, v58, v48
	s_delay_alu instid0(VALU_DEP_4) | instskip(NEXT) | instid1(VALU_DEP_3)
	v_fmac_f32_e32 v52, v60, v38
	v_fma_f32 v53, v60, v39, -v34
	scratch_load_b128 v[58:61], off, off offset:604 ; 16-byte Folded Reload
	s_waitcnt vmcnt(0)
	v_mul_f32_e32 v34, v59, v42
	v_mul_f32_e32 v36, v59, v43
	;; [unrolled: 1-line block ×3, first 2 shown]
	s_delay_alu instid0(VALU_DEP_3) | instskip(SKIP_1) | instid1(VALU_DEP_4)
	v_fma_f32 v43, v58, v43, -v34
	v_mul_f32_e32 v34, v61, v54
	v_fmac_f32_e32 v36, v58, v42
	s_delay_alu instid0(VALU_DEP_4) | instskip(NEXT) | instid1(VALU_DEP_3)
	v_fmac_f32_e32 v37, v60, v54
	v_fma_f32 v44, v60, v55, -v34
	scratch_load_b128 v[58:61], off, off offset:620 ; 16-byte Folded Reload
	s_waitcnt vmcnt(0)
	v_mul_f32_e32 v42, v59, v47
	v_mul_f32_e32 v34, v59, v46
	s_delay_alu instid0(VALU_DEP_2) | instskip(NEXT) | instid1(VALU_DEP_2)
	v_fmac_f32_e32 v42, v58, v46
	v_fma_f32 v45, v58, v47, -v34
	v_mul_f32_e32 v46, v61, v64
	v_mul_f32_e32 v34, v61, v63
	s_delay_alu instid0(VALU_DEP_2) | instskip(NEXT) | instid1(VALU_DEP_2)
	v_fmac_f32_e32 v46, v60, v63
	v_fma_f32 v47, v60, v64, -v34
	scratch_load_b128 v[58:61], off, off offset:636 ; 16-byte Folded Reload
	s_waitcnt vmcnt(0)
	v_mul_f32_e32 v48, v59, v51
	v_mul_f32_e32 v34, v59, v50
	s_delay_alu instid0(VALU_DEP_2) | instskip(NEXT) | instid1(VALU_DEP_2)
	v_fmac_f32_e32 v48, v58, v50
	v_fma_f32 v49, v58, v51, -v34
	v_mul_f32_e32 v50, v61, v68
	v_mul_f32_e32 v34, v61, v67
	s_delay_alu instid0(VALU_DEP_2) | instskip(NEXT) | instid1(VALU_DEP_2)
	v_fmac_f32_e32 v50, v60, v67
	v_fma_f32 v51, v60, v68, -v34
	scratch_load_b128 v[60:63], off, off offset:712 ; 16-byte Folded Reload
	s_waitcnt vmcnt(0)
	v_mul_f32_e32 v35, v61, v76
	v_mul_f32_e32 v34, v61, v77
	;; [unrolled: 1-line block ×3, first 2 shown]
	s_delay_alu instid0(VALU_DEP_3) | instskip(NEXT) | instid1(VALU_DEP_3)
	v_fma_f32 v61, v60, v77, -v35
	v_dual_mul_f32 v35, v63, v57 :: v_dual_fmac_f32 v34, v60, v76
	v_mul_f32_e32 v76, v135, v105
	v_mul_f32_e32 v77, v135, v104
	s_delay_alu instid0(VALU_DEP_3)
	v_fmac_f32_e32 v35, v62, v56
	v_fma_f32 v62, v62, v57, -v38
	scratch_load_b128 v[54:57], off, off offset:752 ; 16-byte Folded Reload
	v_fmac_f32_e32 v76, v134, v104
	v_fma_f32 v77, v134, v105, -v77
	s_waitcnt vmcnt(0)
	v_mul_f32_e32 v38, v55, v80
	v_mul_f32_e32 v60, v55, v81
	;; [unrolled: 1-line block ×3, first 2 shown]
	s_delay_alu instid0(VALU_DEP_3) | instskip(SKIP_1) | instid1(VALU_DEP_4)
	v_fma_f32 v63, v54, v81, -v38
	v_mul_f32_e32 v38, v57, v65
	v_fmac_f32_e32 v60, v54, v80
	s_delay_alu instid0(VALU_DEP_4) | instskip(SKIP_1) | instid1(VALU_DEP_4)
	v_fmac_f32_e32 v64, v56, v65
	v_dual_mul_f32 v80, v131, v108 :: v_dual_mul_f32 v81, v181, v113
	v_fma_f32 v65, v56, v66, -v38
	scratch_load_b128 v[54:57], off, off offset:768 ; 16-byte Folded Reload
	v_fma_f32 v97, v130, v109, -v80
	v_mul_f32_e32 v80, v181, v114
	s_delay_alu instid0(VALU_DEP_1) | instskip(SKIP_3) | instid1(VALU_DEP_2)
	v_fmac_f32_e32 v80, v180, v113
	s_waitcnt vmcnt(0)
	v_mul_f32_e32 v66, v55, v87
	v_mul_f32_e32 v38, v55, v86
	v_fmac_f32_e32 v66, v54, v86
	s_delay_alu instid0(VALU_DEP_2) | instskip(SKIP_2) | instid1(VALU_DEP_2)
	v_fma_f32 v67, v54, v87, -v38
	v_mul_f32_e32 v86, v57, v70
	v_mul_f32_e32 v38, v57, v69
	v_fmac_f32_e32 v86, v56, v69
	s_delay_alu instid0(VALU_DEP_2)
	v_fma_f32 v87, v56, v70, -v38
	s_clause 0x1
	scratch_load_b128 v[54:57], off, off offset:784
	scratch_load_b128 v[68:71], off, off offset:816
	s_waitcnt vmcnt(1)
	v_mul_f32_e32 v38, v55, v79
	v_mul_f32_e32 v39, v55, v78
	s_waitcnt vmcnt(0)
	v_mul_f32_e32 v58, v71, v103
	v_mul_f32_e32 v59, v71, v102
	v_fmac_f32_e32 v38, v54, v78
	v_fma_f32 v55, v54, v79, -v39
	v_mul_f32_e32 v39, v57, v99
	v_mul_f32_e32 v54, v57, v98
	;; [unrolled: 1-line block ×3, first 2 shown]
	v_fmac_f32_e32 v58, v70, v102
	v_fma_f32 v59, v70, v103, -v59
	v_fmac_f32_e32 v39, v56, v98
	v_fma_f32 v56, v56, v99, -v54
	v_mul_f32_e32 v54, v69, v83
	scratch_load_b128 v[69:72], off, off offset:852 ; 16-byte Folded Reload
	v_fma_f32 v57, v68, v83, -v57
	s_waitcnt lgkmcnt(1)
	v_mul_f32_e32 v78, v129, v120
	v_dual_mul_f32 v79, v129, v119 :: v_dual_fmac_f32 v54, v68, v82
	s_delay_alu instid0(VALU_DEP_2) | instskip(NEXT) | instid1(VALU_DEP_2)
	v_fmac_f32_e32 v78, v128, v119
	v_fma_f32 v79, v128, v120, -v79
	s_waitcnt vmcnt(0)
	v_mul_f32_e32 v82, v70, v89
	v_mul_f32_e32 v68, v70, v88
	;; [unrolled: 1-line block ×4, first 2 shown]
	s_delay_alu instid0(VALU_DEP_4) | instskip(NEXT) | instid1(VALU_DEP_4)
	v_fmac_f32_e32 v82, v69, v88
	v_fma_f32 v83, v69, v89, -v68
	v_dual_mul_f32 v68, v72, v106 :: v_dual_mul_f32 v69, v137, v111
	v_fmac_f32_e32 v84, v71, v106
	v_fma_f32 v72, v138, v101, -v70
	v_mul_f32_e32 v70, v133, v116
	s_delay_alu instid0(VALU_DEP_4) | instskip(SKIP_2) | instid1(VALU_DEP_4)
	v_fma_f32 v85, v71, v107, -v68
	v_fma_f32 v71, v136, v112, -v69
	v_dual_mul_f32 v69, v139, v101 :: v_dual_mul_f32 v68, v137, v112
	v_fmac_f32_e32 v70, v132, v115
	v_fma_f32 v89, v180, v114, -v81
	v_mul_f32_e32 v81, v183, v91
	s_delay_alu instid0(VALU_DEP_4) | instskip(SKIP_4) | instid1(VALU_DEP_2)
	v_fmac_f32_e32 v69, v138, v100
	scratch_load_b128 v[98:101], off, off offset:940 ; 16-byte Folded Reload
	v_fmac_f32_e32 v68, v136, v111
	v_mul_f32_e32 v88, v183, v90
	v_fmac_f32_e32 v81, v182, v90
	v_fma_f32 v90, v182, v91, -v88
	v_mul_f32_e32 v88, v173, v118
	v_mul_f32_e32 v91, v173, v117
	s_delay_alu instid0(VALU_DEP_2) | instskip(NEXT) | instid1(VALU_DEP_2)
	v_fmac_f32_e32 v88, v172, v117
	v_fma_f32 v91, v172, v118, -v91
	s_waitcnt vmcnt(0)
	v_mul_f32_e32 v94, v99, v122
	v_mul_f32_e32 v95, v99, v121
	s_delay_alu instid0(VALU_DEP_2) | instskip(NEXT) | instid1(VALU_DEP_2)
	v_fmac_f32_e32 v94, v98, v121
	v_fma_f32 v95, v98, v122, -v95
	s_waitcnt lgkmcnt(0)
	v_mul_f32_e32 v98, v101, v17
	s_delay_alu instid0(VALU_DEP_1) | instskip(SKIP_1) | instid1(VALU_DEP_1)
	v_fmac_f32_e32 v98, v100, v16
	v_mul_f32_e32 v16, v101, v16
	v_fma_f32 v99, v100, v17, -v16
	v_add_f32_e32 v16, v21, v74
	v_dual_sub_f32 v21, v21, v74 :: v_dual_add_f32 v74, v18, v24
	v_add_f32_e32 v17, v23, v75
	v_sub_f32_e32 v23, v23, v75
	v_dual_add_f32 v75, v20, v25 :: v_dual_sub_f32 v18, v18, v24
	v_add_f32_e32 v24, v2, v19
	v_dual_sub_f32 v2, v19, v2 :: v_dual_add_f32 v19, v74, v16
	v_dual_sub_f32 v20, v20, v25 :: v_dual_add_f32 v25, v3, v22
	s_delay_alu instid0(VALU_DEP_4) | instskip(NEXT) | instid1(VALU_DEP_3)
	v_dual_sub_f32 v3, v22, v3 :: v_dual_add_f32 v22, v75, v17
	v_dual_add_f32 v19, v24, v19 :: v_dual_add_f32 v102, v2, v18
	v_sub_f32_e32 v104, v2, v18
	v_sub_f32_e32 v106, v21, v2
	s_delay_alu instid0(VALU_DEP_4) | instskip(NEXT) | instid1(VALU_DEP_4)
	v_add_f32_e32 v22, v25, v22
	v_add_f32_e32 v2, v19, v12
	v_dual_sub_f32 v100, v74, v16 :: v_dual_sub_f32 v101, v75, v17
	v_dual_sub_f32 v16, v16, v24 :: v_dual_sub_f32 v17, v17, v25
	;; [unrolled: 1-line block ×3, first 2 shown]
	v_add_f32_e32 v103, v3, v20
	v_sub_f32_e32 v105, v3, v20
	v_dual_sub_f32 v107, v23, v3 :: v_dual_sub_f32 v18, v18, v21
	v_dual_add_f32 v3, v22, v13 :: v_dual_mul_f32 v24, 0x3f08b237, v104
	v_mov_b32_e32 v104, v2
	v_dual_sub_f32 v20, v20, v23 :: v_dual_add_f32 v21, v102, v21
	v_dual_mul_f32 v12, 0x3f4a47b2, v16 :: v_dual_mul_f32 v13, 0x3f4a47b2, v17
	v_mul_f32_e32 v17, 0x3d64c772, v75
	v_mul_f32_e32 v102, 0x3f5ff5aa, v18
	v_dual_fmac_f32 v104, 0xbf955555, v19 :: v_dual_mov_b32 v19, v3
	v_dual_add_f32 v23, v103, v23 :: v_dual_mul_f32 v16, 0x3d64c772, v74
	v_mul_f32_e32 v25, 0x3f08b237, v105
	v_mul_f32_e32 v103, 0x3f5ff5aa, v20
	s_delay_alu instid0(VALU_DEP_4)
	v_fmac_f32_e32 v19, 0xbf955555, v22
	v_fmamk_f32 v22, v74, 0x3d64c772, v12
	v_fmamk_f32 v74, v75, 0x3d64c772, v13
	v_fma_f32 v17, 0x3f3bfb3b, v101, -v17
	v_fma_f32 v13, 0xbf3bfb3b, v101, -v13
	v_fmamk_f32 v75, v106, 0xbeae86e6, v24
	v_fma_f32 v101, 0xbf5ff5aa, v18, -v24
	v_fmac_f32_e32 v102, 0x3eae86e6, v106
	v_fma_f32 v16, 0x3f3bfb3b, v100, -v16
	v_fma_f32 v12, 0xbf3bfb3b, v100, -v12
	v_fmamk_f32 v100, v107, 0xbeae86e6, v25
	v_fma_f32 v18, 0xbf5ff5aa, v20, -v25
	v_fmac_f32_e32 v103, 0x3eae86e6, v107
	v_add_f32_e32 v74, v74, v19
	v_add_f32_e32 v17, v17, v19
	;; [unrolled: 1-line block ×3, first 2 shown]
	v_fmac_f32_e32 v75, 0xbee1c552, v21
	v_fmac_f32_e32 v101, 0xbee1c552, v21
	v_fmac_f32_e32 v102, 0xbee1c552, v21
	v_fmac_f32_e32 v100, 0xbee1c552, v23
	v_fmac_f32_e32 v18, 0xbee1c552, v23
	v_fmac_f32_e32 v103, 0xbee1c552, v23
	v_sub_f32_e32 v25, v74, v75
	v_sub_f32_e32 v23, v13, v102
	v_add_f32_e32 v21, v101, v17
	v_sub_f32_e32 v19, v17, v101
	v_add_f32_e32 v17, v102, v13
	v_add_f32_e32 v13, v75, v74
	v_add_f32_e32 v74, v31, v52
	v_sub_f32_e32 v31, v31, v52
	v_dual_add_f32 v52, v28, v40 :: v_dual_add_f32 v75, v33, v53
	v_sub_f32_e32 v33, v33, v53
	v_dual_add_f32 v53, v30, v41 :: v_dual_sub_f32 v28, v28, v40
	v_add_f32_e32 v40, v26, v29
	v_sub_f32_e32 v26, v29, v26
	v_add_f32_e32 v29, v52, v74
	v_add_f32_e32 v105, v22, v104
	;; [unrolled: 1-line block ×4, first 2 shown]
	v_dual_sub_f32 v30, v30, v41 :: v_dual_add_f32 v41, v27, v32
	v_sub_f32_e32 v27, v32, v27
	v_dual_add_f32 v32, v53, v75 :: v_dual_add_f32 v29, v40, v29
	v_add_f32_e32 v24, v100, v105
	v_add_f32_e32 v22, v103, v12
	v_sub_f32_e32 v20, v16, v18
	v_add_f32_e32 v18, v18, v16
	v_sub_f32_e32 v16, v12, v103
	v_sub_f32_e32 v12, v105, v100
	;; [unrolled: 1-line block ×5, first 2 shown]
	v_add_f32_e32 v32, v41, v32
	v_add_f32_e32 v40, v29, v14
	v_sub_f32_e32 v101, v53, v75
	v_sub_f32_e32 v75, v75, v41
	v_dual_sub_f32 v53, v41, v53 :: v_dual_add_f32 v102, v26, v28
	v_dual_sub_f32 v104, v26, v28 :: v_dual_add_f32 v41, v32, v15
	v_mov_b32_e32 v106, v40
	v_sub_f32_e32 v26, v31, v26
	v_sub_f32_e32 v28, v28, v31
	v_dual_add_f32 v31, v102, v31 :: v_dual_mul_f32 v14, 0x3f4a47b2, v74
	v_mul_f32_e32 v15, 0x3f4a47b2, v75
	v_dual_mul_f32 v74, 0x3d64c772, v52 :: v_dual_mul_f32 v75, 0x3d64c772, v53
	v_mul_f32_e32 v102, 0x3f08b237, v104
	v_dual_fmac_f32 v106, 0xbf955555, v29 :: v_dual_mov_b32 v29, v41
	v_add_f32_e32 v103, v27, v30
	v_dual_sub_f32 v105, v27, v30 :: v_dual_sub_f32 v30, v30, v33
	v_sub_f32_e32 v27, v33, v27
	s_delay_alu instid0(VALU_DEP_4)
	v_fmac_f32_e32 v29, 0xbf955555, v32
	v_fmamk_f32 v32, v52, 0x3d64c772, v14
	v_fmamk_f32 v52, v53, 0x3d64c772, v15
	v_fma_f32 v53, 0x3f3bfb3b, v100, -v74
	v_fma_f32 v74, 0x3f3bfb3b, v101, -v75
	;; [unrolled: 1-line block ×4, first 2 shown]
	v_add_f32_e32 v33, v103, v33
	v_mul_f32_e32 v103, 0x3f08b237, v105
	v_mul_f32_e32 v105, 0x3f5ff5aa, v30
	v_fma_f32 v14, 0xbf3bfb3b, v100, -v14
	v_fmamk_f32 v75, v26, 0xbeae86e6, v102
	v_dual_add_f32 v74, v74, v29 :: v_dual_fmac_f32 v101, 0xbee1c552, v31
	v_mul_f32_e32 v104, 0x3f5ff5aa, v28
	v_fmamk_f32 v100, v27, 0xbeae86e6, v103
	v_fma_f32 v28, 0xbf5ff5aa, v30, -v103
	v_dual_fmac_f32 v105, 0x3eae86e6, v27 :: v_dual_add_f32 v32, v32, v106
	v_add_f32_e32 v102, v52, v29
	v_add_f32_e32 v30, v53, v106
	v_dual_add_f32 v103, v14, v106 :: v_dual_add_f32 v106, v15, v29
	v_fmac_f32_e32 v75, 0xbee1c552, v31
	v_add_f32_e32 v27, v101, v74
	v_dual_sub_f32 v29, v74, v101 :: v_dual_add_f32 v74, v36, v50
	v_sub_f32_e32 v36, v36, v50
	v_add_f32_e32 v50, v37, v48
	v_fmac_f32_e32 v104, 0x3eae86e6, v26
	v_fmac_f32_e32 v100, 0xbee1c552, v33
	;; [unrolled: 1-line block ×4, first 2 shown]
	v_sub_f32_e32 v53, v102, v75
	v_add_f32_e32 v33, v75, v102
	v_add_f32_e32 v75, v43, v51
	v_sub_f32_e32 v43, v43, v51
	v_add_f32_e32 v51, v44, v49
	v_dual_sub_f32 v37, v37, v48 :: v_dual_add_f32 v48, v42, v46
	v_sub_f32_e32 v42, v46, v42
	v_add_f32_e32 v46, v50, v74
	v_fmac_f32_e32 v104, 0xbee1c552, v31
	v_dual_sub_f32 v44, v44, v49 :: v_dual_add_f32 v49, v45, v47
	v_sub_f32_e32 v45, v47, v45
	v_dual_add_f32 v47, v51, v75 :: v_dual_add_f32 v102, v42, v37
	v_add_f32_e32 v46, v48, v46
	v_add_f32_e32 v52, v100, v32
	v_dual_add_f32 v14, v105, v103 :: v_dual_sub_f32 v15, v106, v104
	v_sub_f32_e32 v26, v30, v28
	v_add_f32_e32 v28, v28, v30
	v_dual_sub_f32 v30, v103, v105 :: v_dual_add_f32 v31, v104, v106
	v_sub_f32_e32 v32, v32, v100
	v_sub_f32_e32 v100, v50, v74
	;; [unrolled: 1-line block ×4, first 2 shown]
	v_dual_sub_f32 v104, v42, v37 :: v_dual_sub_f32 v105, v45, v44
	v_sub_f32_e32 v42, v36, v42
	v_sub_f32_e32 v106, v37, v36
	v_dual_add_f32 v47, v49, v47 :: v_dual_add_f32 v48, v102, v36
	v_dual_add_f32 v36, v46, v8 :: v_dual_sub_f32 v101, v51, v75
	v_sub_f32_e32 v75, v75, v49
	v_dual_add_f32 v103, v45, v44 :: v_dual_sub_f32 v44, v44, v43
	s_delay_alu instid0(VALU_DEP_4) | instskip(NEXT) | instid1(VALU_DEP_4)
	v_add_f32_e32 v37, v47, v9
	v_dual_mul_f32 v102, 0x3f08b237, v105 :: v_dual_mov_b32 v105, v36
	v_sub_f32_e32 v51, v49, v51
	v_dual_sub_f32 v45, v43, v45 :: v_dual_mul_f32 v8, 0x3f4a47b2, v74
	v_mul_f32_e32 v9, 0x3f4a47b2, v75
	v_mul_f32_e32 v75, 0x3f08b237, v104
	;; [unrolled: 1-line block ×3, first 2 shown]
	v_dual_fmac_f32 v105, 0xbf955555, v46 :: v_dual_mov_b32 v46, v37
	v_add_f32_e32 v43, v103, v43
	v_dual_mul_f32 v49, 0x3d64c772, v50 :: v_dual_mul_f32 v74, 0x3d64c772, v51
	v_mul_f32_e32 v103, 0x3f5ff5aa, v106
	s_delay_alu instid0(VALU_DEP_4)
	v_fmac_f32_e32 v46, 0xbf955555, v47
	v_fmamk_f32 v47, v50, 0x3d64c772, v8
	v_fma_f32 v8, 0xbf3bfb3b, v100, -v8
	v_fmac_f32_e32 v104, 0x3eae86e6, v45
	v_fmamk_f32 v50, v51, 0x3d64c772, v9
	v_fma_f32 v49, 0x3f3bfb3b, v100, -v49
	v_fma_f32 v51, 0x3f3bfb3b, v101, -v74
	;; [unrolled: 1-line block ×3, first 2 shown]
	v_dual_fmamk_f32 v100, v42, 0xbeae86e6, v75 :: v_dual_fmamk_f32 v101, v45, 0xbeae86e6, v102
	v_fma_f32 v106, 0xbf5ff5aa, v106, -v75
	v_fma_f32 v102, 0xbf5ff5aa, v44, -v102
	v_dual_fmac_f32 v103, 0x3eae86e6, v42 :: v_dual_add_f32 v8, v8, v105
	v_dual_fmac_f32 v104, 0xbee1c552, v43 :: v_dual_add_f32 v107, v47, v105
	v_add_f32_e32 v47, v49, v105
	v_add_f32_e32 v49, v51, v46
	v_dual_add_f32 v9, v9, v46 :: v_dual_fmac_f32 v100, 0xbee1c552, v48
	v_fmac_f32_e32 v106, 0xbee1c552, v48
	v_dual_fmac_f32 v102, 0xbee1c552, v43 :: v_dual_fmac_f32 v103, 0xbee1c552, v48
	v_add_f32_e32 v42, v104, v8
	v_sub_f32_e32 v48, v8, v104
	v_add_f32_e32 v8, v34, v86
	v_sub_f32_e32 v34, v34, v86
	v_add_f32_e32 v86, v35, v66
	v_dual_add_f32 v108, v50, v46 :: v_dual_fmac_f32 v101, 0xbee1c552, v43
	v_dual_sub_f32 v43, v9, v103 :: v_dual_sub_f32 v44, v47, v102
	v_add_f32_e32 v45, v106, v49
	v_dual_add_f32 v46, v102, v47 :: v_dual_sub_f32 v47, v49, v106
	v_add_f32_e32 v49, v103, v9
	v_add_f32_e32 v9, v61, v87
	v_sub_f32_e32 v61, v61, v87
	v_add_f32_e32 v87, v62, v67
	v_dual_sub_f32 v35, v35, v66 :: v_dual_add_f32 v66, v60, v64
	v_sub_f32_e32 v60, v64, v60
	v_add_f32_e32 v64, v86, v8
	v_dual_sub_f32 v62, v62, v67 :: v_dual_add_f32 v67, v63, v65
	v_sub_f32_e32 v63, v65, v63
	s_delay_alu instid0(VALU_DEP_3) | instskip(SKIP_1) | instid1(VALU_DEP_3)
	v_dual_add_f32 v65, v87, v9 :: v_dual_add_f32 v64, v66, v64
	v_add_f32_e32 v102, v60, v35
	v_dual_sub_f32 v104, v60, v35 :: v_dual_add_f32 v103, v63, v62
	v_dual_sub_f32 v105, v63, v62 :: v_dual_sub_f32 v106, v34, v60
	s_delay_alu instid0(VALU_DEP_4)
	v_dual_add_f32 v65, v67, v65 :: v_dual_add_f32 v60, v64, v10
	v_dual_add_f32 v74, v101, v107 :: v_dual_sub_f32 v75, v108, v100
	v_dual_sub_f32 v50, v107, v101 :: v_dual_add_f32 v51, v100, v108
	v_dual_sub_f32 v100, v86, v8 :: v_dual_sub_f32 v101, v87, v9
	v_dual_sub_f32 v8, v8, v66 :: v_dual_sub_f32 v9, v9, v67
	v_dual_sub_f32 v86, v66, v86 :: v_dual_sub_f32 v87, v67, v87
	v_sub_f32_e32 v63, v61, v63
	v_dual_sub_f32 v35, v35, v34 :: v_dual_sub_f32 v62, v62, v61
	v_add_f32_e32 v34, v102, v34
	v_dual_add_f32 v66, v103, v61 :: v_dual_add_f32 v61, v65, v11
	v_dual_mul_f32 v102, 0x3f08b237, v105 :: v_dual_mov_b32 v105, v60
	v_dual_mul_f32 v8, 0x3f4a47b2, v8 :: v_dual_mul_f32 v9, 0x3f4a47b2, v9
	v_mul_f32_e32 v11, 0x3d64c772, v87
	v_mul_f32_e32 v67, 0x3f08b237, v104
	s_delay_alu instid0(VALU_DEP_4)
	v_dual_fmac_f32 v105, 0xbf955555, v64 :: v_dual_mov_b32 v64, v61
	v_mul_f32_e32 v10, 0x3d64c772, v86
	v_mul_f32_e32 v103, 0x3f5ff5aa, v35
	v_fma_f32 v11, 0x3f3bfb3b, v101, -v11
	v_fma_f32 v35, 0xbf5ff5aa, v35, -v67
	v_fmac_f32_e32 v64, 0xbf955555, v65
	v_dual_fmamk_f32 v65, v86, 0x3d64c772, v8 :: v_dual_fmamk_f32 v86, v87, 0x3d64c772, v9
	v_fmamk_f32 v87, v106, 0xbeae86e6, v67
	v_mul_f32_e32 v104, 0x3f5ff5aa, v62
	v_fma_f32 v9, 0xbf3bfb3b, v101, -v9
	v_add_f32_e32 v11, v11, v64
	s_delay_alu instid0(VALU_DEP_4)
	v_dual_add_f32 v86, v86, v64 :: v_dual_fmac_f32 v87, 0xbee1c552, v34
	v_fmac_f32_e32 v35, 0xbee1c552, v34
	v_fma_f32 v10, 0x3f3bfb3b, v100, -v10
	v_fma_f32 v8, 0xbf3bfb3b, v100, -v8
	v_fmamk_f32 v100, v63, 0xbeae86e6, v102
	v_dual_fmac_f32 v103, 0x3eae86e6, v106 :: v_dual_fmac_f32 v104, 0x3eae86e6, v63
	v_dual_add_f32 v106, v9, v64 :: v_dual_sub_f32 v63, v86, v87
	v_add_f32_e32 v67, v35, v11
	v_sub_f32_e32 v9, v11, v35
	v_dual_add_f32 v35, v87, v86 :: v_dual_add_f32 v86, v38, v84
	v_sub_f32_e32 v38, v38, v84
	v_add_f32_e32 v84, v39, v82
	v_fma_f32 v101, 0xbf5ff5aa, v62, -v102
	v_add_f32_e32 v102, v65, v105
	v_dual_fmac_f32 v100, 0xbee1c552, v66 :: v_dual_add_f32 v87, v55, v85
	v_sub_f32_e32 v55, v55, v85
	v_add_f32_e32 v85, v56, v83
	v_sub_f32_e32 v39, v39, v82
	v_add_f32_e32 v82, v54, v58
	;; [unrolled: 2-line block ×3, first 2 shown]
	v_add_f32_e32 v10, v10, v105
	v_add_f32_e32 v105, v8, v105
	v_fmac_f32_e32 v101, 0xbee1c552, v66
	v_fmac_f32_e32 v103, 0xbee1c552, v34
	;; [unrolled: 1-line block ×3, first 2 shown]
	v_add_f32_e32 v62, v100, v102
	v_sub_f32_e32 v34, v102, v100
	v_sub_f32_e32 v56, v56, v83
	v_add_f32_e32 v83, v57, v59
	v_sub_f32_e32 v57, v59, v57
	v_add_f32_e32 v59, v85, v87
	v_add_f32_e32 v102, v54, v39
	;; [unrolled: 1-line block ×3, first 2 shown]
	v_dual_add_f32 v64, v104, v105 :: v_dual_sub_f32 v65, v106, v103
	v_sub_f32_e32 v66, v10, v101
	v_add_f32_e32 v8, v101, v10
	v_dual_sub_f32 v10, v105, v104 :: v_dual_add_f32 v11, v103, v106
	v_sub_f32_e32 v100, v84, v86
	v_sub_f32_e32 v86, v86, v82
	;; [unrolled: 1-line block ×3, first 2 shown]
	v_dual_sub_f32 v104, v54, v39 :: v_dual_sub_f32 v105, v57, v56
	v_sub_f32_e32 v54, v38, v54
	v_sub_f32_e32 v106, v39, v38
	v_dual_add_f32 v59, v83, v59 :: v_dual_add_f32 v82, v102, v38
	v_dual_add_f32 v38, v58, v4 :: v_dual_sub_f32 v101, v85, v87
	v_sub_f32_e32 v87, v87, v83
	v_dual_add_f32 v103, v57, v56 :: v_dual_sub_f32 v56, v56, v55
	s_delay_alu instid0(VALU_DEP_4) | instskip(NEXT) | instid1(VALU_DEP_4)
	v_add_f32_e32 v39, v59, v5
	v_dual_mul_f32 v102, 0x3f08b237, v105 :: v_dual_mov_b32 v105, v38
	v_sub_f32_e32 v85, v83, v85
	v_dual_sub_f32 v57, v55, v57 :: v_dual_mul_f32 v4, 0x3f4a47b2, v86
	v_mul_f32_e32 v5, 0x3f4a47b2, v87
	v_mul_f32_e32 v83, 0x3d64c772, v84
	;; [unrolled: 1-line block ×4, first 2 shown]
	v_dual_fmac_f32 v105, 0xbf955555, v58 :: v_dual_mov_b32 v58, v39
	v_dual_add_f32 v55, v103, v55 :: v_dual_mul_f32 v86, 0x3d64c772, v85
	v_mul_f32_e32 v103, 0x3f5ff5aa, v106
	v_fma_f32 v83, 0x3f3bfb3b, v100, -v83
	s_delay_alu instid0(VALU_DEP_4)
	v_fmac_f32_e32 v58, 0xbf955555, v59
	v_fmamk_f32 v59, v84, 0x3d64c772, v4
	v_fma_f32 v4, 0xbf3bfb3b, v100, -v4
	v_fma_f32 v56, 0xbf5ff5aa, v56, -v102
	v_fmac_f32_e32 v104, 0x3eae86e6, v57
	v_fmamk_f32 v84, v85, 0x3d64c772, v5
	v_fma_f32 v85, 0x3f3bfb3b, v101, -v86
	v_fma_f32 v5, 0xbf3bfb3b, v101, -v5
	v_fmamk_f32 v100, v54, 0xbeae86e6, v87
	v_fma_f32 v106, 0xbf5ff5aa, v106, -v87
	v_dual_fmac_f32 v103, 0x3eae86e6, v54 :: v_dual_add_f32 v54, v83, v105
	v_add_f32_e32 v4, v4, v105
	v_fmac_f32_e32 v56, 0xbee1c552, v55
	v_fmac_f32_e32 v104, 0xbee1c552, v55
	v_dual_fmamk_f32 v101, v57, 0xbeae86e6, v102 :: v_dual_add_f32 v102, v84, v58
	v_add_f32_e32 v57, v85, v58
	v_add_f32_e32 v5, v5, v58
	v_fmac_f32_e32 v106, 0xbee1c552, v82
	v_dual_fmac_f32 v103, 0xbee1c552, v82 :: v_dual_add_f32 v84, v104, v4
	v_sub_f32_e32 v86, v54, v56
	v_add_f32_e32 v54, v56, v54
	v_sub_f32_e32 v56, v4, v104
	v_add_f32_e32 v4, v68, v96
	v_sub_f32_e32 v68, v68, v96
	v_dual_add_f32 v96, v69, v78 :: v_dual_fmac_f32 v101, 0xbee1c552, v55
	v_sub_f32_e32 v85, v5, v103
	v_add_f32_e32 v87, v106, v57
	v_sub_f32_e32 v55, v57, v106
	v_add_f32_e32 v57, v103, v5
	v_add_f32_e32 v5, v71, v97
	v_sub_f32_e32 v71, v71, v97
	v_add_f32_e32 v97, v72, v79
	v_dual_sub_f32 v69, v69, v78 :: v_dual_add_f32 v78, v70, v76
	v_sub_f32_e32 v70, v76, v70
	v_add_f32_e32 v76, v96, v4
	v_dual_sub_f32 v72, v72, v79 :: v_dual_add_f32 v79, v73, v77
	v_sub_f32_e32 v73, v77, v73
	s_delay_alu instid0(VALU_DEP_3) | instskip(SKIP_2) | instid1(VALU_DEP_3)
	v_dual_add_f32 v77, v97, v5 :: v_dual_add_f32 v76, v78, v76
	v_dual_add_f32 v59, v59, v105 :: v_dual_fmac_f32 v100, 0xbee1c552, v82
	v_sub_f32_e32 v104, v70, v69
	v_dual_add_f32 v77, v79, v77 :: v_dual_add_f32 v6, v76, v6
	s_delay_alu instid0(VALU_DEP_3)
	v_dual_add_f32 v82, v101, v59 :: v_dual_sub_f32 v83, v102, v100
	v_dual_sub_f32 v58, v59, v101 :: v_dual_add_f32 v59, v100, v102
	v_dual_sub_f32 v100, v96, v4 :: v_dual_sub_f32 v101, v97, v5
	v_dual_sub_f32 v4, v4, v78 :: v_dual_sub_f32 v5, v5, v79
	v_dual_add_f32 v102, v70, v69 :: v_dual_sub_f32 v69, v69, v68
	v_dual_add_f32 v7, v77, v7 :: v_dual_mov_b32 v106, v6
	v_dual_sub_f32 v96, v78, v96 :: v_dual_sub_f32 v97, v79, v97
	v_add_f32_e32 v103, v73, v72
	v_dual_sub_f32 v105, v73, v72 :: v_dual_sub_f32 v70, v68, v70
	v_sub_f32_e32 v72, v72, v71
	v_add_f32_e32 v68, v102, v68
	v_dual_mul_f32 v4, 0x3f4a47b2, v4 :: v_dual_mul_f32 v5, 0x3f4a47b2, v5
	v_mul_f32_e32 v102, 0x3f08b237, v104
	v_mul_f32_e32 v104, 0x3f5ff5aa, v69
	v_fmac_f32_e32 v106, 0xbf955555, v76
	v_mov_b32_e32 v76, v7
	v_sub_f32_e32 v73, v71, v73
	v_dual_add_f32 v71, v103, v71 :: v_dual_mul_f32 v78, 0x3d64c772, v96
	v_mul_f32_e32 v79, 0x3d64c772, v97
	v_mul_f32_e32 v103, 0x3f08b237, v105
	;; [unrolled: 1-line block ×3, first 2 shown]
	v_fmac_f32_e32 v76, 0xbf955555, v77
	v_dual_fmamk_f32 v77, v96, 0x3d64c772, v4 :: v_dual_fmamk_f32 v96, v97, 0x3d64c772, v5
	v_fma_f32 v5, 0xbf3bfb3b, v101, -v5
	v_fmamk_f32 v97, v70, 0xbeae86e6, v102
	v_fmac_f32_e32 v104, 0x3eae86e6, v70
	v_fma_f32 v78, 0x3f3bfb3b, v100, -v78
	v_fma_f32 v79, 0x3f3bfb3b, v101, -v79
	;; [unrolled: 1-line block ×3, first 2 shown]
	v_fmamk_f32 v100, v73, 0xbeae86e6, v103
	v_fma_f32 v101, 0xbf5ff5aa, v69, -v102
	v_fma_f32 v102, 0xbf5ff5aa, v72, -v103
	v_dual_fmac_f32 v105, 0x3eae86e6, v73 :: v_dual_add_f32 v96, v96, v76
	v_add_f32_e32 v5, v5, v76
	v_fmac_f32_e32 v97, 0xbee1c552, v68
	v_dual_fmac_f32 v104, 0xbee1c552, v68 :: v_dual_add_f32 v103, v77, v106
	v_dual_add_f32 v77, v78, v106 :: v_dual_add_f32 v78, v79, v76
	v_fmac_f32_e32 v100, 0xbee1c552, v71
	v_fmac_f32_e32 v102, 0xbee1c552, v71
	;; [unrolled: 1-line block ×3, first 2 shown]
	v_sub_f32_e32 v69, v96, v97
	v_sub_f32_e32 v71, v5, v104
	v_add_f32_e32 v79, v104, v5
	v_dual_add_f32 v5, v97, v96 :: v_dual_add_f32 v96, v80, v98
	v_sub_f32_e32 v80, v80, v98
	v_add_f32_e32 v98, v81, v94
	v_add_f32_e32 v97, v89, v99
	v_sub_f32_e32 v89, v89, v99
	v_add_f32_e32 v99, v90, v95
	v_dual_sub_f32 v81, v81, v94 :: v_dual_add_f32 v94, v88, v92
	v_sub_f32_e32 v88, v92, v88
	v_add_f32_e32 v92, v98, v96
	v_dual_add_f32 v4, v4, v106 :: v_dual_fmac_f32 v101, 0xbee1c552, v68
	v_sub_f32_e32 v72, v77, v102
	v_add_f32_e32 v76, v102, v77
	v_dual_sub_f32 v90, v90, v95 :: v_dual_add_f32 v95, v91, v93
	v_sub_f32_e32 v91, v93, v91
	v_add_f32_e32 v93, v99, v97
	v_add_f32_e32 v102, v88, v81
	;; [unrolled: 1-line block ×6, first 2 shown]
	v_sub_f32_e32 v77, v78, v101
	v_sub_f32_e32 v78, v4, v105
	;; [unrolled: 1-line block ×6, first 2 shown]
	v_dual_sub_f32 v104, v88, v81 :: v_dual_sub_f32 v105, v91, v90
	v_sub_f32_e32 v88, v80, v88
	v_dual_sub_f32 v106, v81, v80 :: v_dual_add_f32 v93, v95, v93
	v_add_f32_e32 v94, v102, v80
	v_dual_add_f32 v80, v92, v0 :: v_dual_sub_f32 v101, v99, v97
	v_sub_f32_e32 v97, v97, v95
	v_sub_f32_e32 v99, v95, v99
	v_dual_add_f32 v103, v91, v90 :: v_dual_sub_f32 v90, v90, v89
	v_add_f32_e32 v81, v93, v1
	v_dual_mul_f32 v102, 0x3f08b237, v105 :: v_dual_mov_b32 v105, v80
	v_sub_f32_e32 v91, v89, v91
	s_delay_alu instid0(VALU_DEP_4)
	v_dual_add_f32 v89, v103, v89 :: v_dual_mul_f32 v0, 0x3f4a47b2, v96
	v_mul_f32_e32 v1, 0x3f4a47b2, v97
	v_dual_mul_f32 v95, 0x3d64c772, v98 :: v_dual_mul_f32 v96, 0x3d64c772, v99
	v_mul_f32_e32 v97, 0x3f08b237, v104
	v_mul_f32_e32 v103, 0x3f5ff5aa, v106
	;; [unrolled: 1-line block ×3, first 2 shown]
	v_dual_fmac_f32 v105, 0xbf955555, v92 :: v_dual_mov_b32 v92, v81
	v_fma_f32 v95, 0x3f3bfb3b, v100, -v95
	v_fma_f32 v96, 0x3f3bfb3b, v101, -v96
	s_delay_alu instid0(VALU_DEP_4) | instskip(NEXT) | instid1(VALU_DEP_4)
	v_dual_fmac_f32 v103, 0x3eae86e6, v88 :: v_dual_fmac_f32 v104, 0x3eae86e6, v91
	v_fmac_f32_e32 v92, 0xbf955555, v93
	v_dual_fmamk_f32 v93, v98, 0x3d64c772, v0 :: v_dual_fmamk_f32 v98, v99, 0x3d64c772, v1
	v_fma_f32 v0, 0xbf3bfb3b, v100, -v0
	v_fma_f32 v1, 0xbf3bfb3b, v101, -v1
	v_dual_fmamk_f32 v99, v88, 0xbeae86e6, v97 :: v_dual_fmamk_f32 v100, v91, 0xbeae86e6, v102
	v_fma_f32 v97, 0xbf5ff5aa, v106, -v97
	v_fma_f32 v101, 0xbf5ff5aa, v90, -v102
	ds_store_b64 v110, v[24:25] offset:2744
	ds_store_b64 v110, v[22:23] offset:5488
	;; [unrolled: 1-line block ×6, first 2 shown]
	ds_store_2addr_b64 v110, v[2:3], v[40:41] offset1:49
	ds_store_2addr_b64 v194, v[52:53], v[74:75] offset0:136 offset1:185
	v_add_nc_u32_e32 v2, 0x1400, v110
	v_add_f32_e32 v102, v93, v105
	v_dual_add_f32 v98, v98, v92 :: v_dual_add_f32 v95, v95, v105
	v_add_f32_e32 v96, v96, v92
	v_dual_add_f32 v0, v0, v105 :: v_dual_add_f32 v1, v1, v92
	v_dual_fmac_f32 v99, 0xbee1c552, v94 :: v_dual_fmac_f32 v100, 0xbee1c552, v89
	v_fmac_f32_e32 v97, 0xbee1c552, v94
	v_fmac_f32_e32 v101, 0xbee1c552, v89
	v_dual_fmac_f32 v103, 0xbee1c552, v94 :: v_dual_fmac_f32 v104, 0xbee1c552, v89
	ds_store_2addr_b64 v2, v[14:15], v[42:43] offset0:95 offset1:144
	ds_store_2addr_b64 v198, v[26:27], v[44:45] offset0:54 offset1:103
	;; [unrolled: 1-line block ×9, first 2 shown]
	v_add_nc_u32_e32 v2, 0x2c00, v110
	v_dual_add_f32 v88, v100, v102 :: v_dual_sub_f32 v89, v98, v99
	v_dual_add_f32 v90, v104, v0 :: v_dual_sub_f32 v91, v1, v103
	v_dual_sub_f32 v92, v95, v101 :: v_dual_add_f32 v93, v97, v96
	v_dual_add_f32 v94, v101, v95 :: v_dual_sub_f32 v95, v96, v97
	v_dual_sub_f32 v96, v0, v104 :: v_dual_add_f32 v97, v103, v1
	v_dual_sub_f32 v0, v102, v100 :: v_dual_add_f32 v1, v99, v98
	ds_store_2addr_b64 v2, v[8:9], v[54:55] offset0:111 offset1:160
	ds_store_2addr_b64 v195, v[10:11], v[56:57] offset0:70 offset1:119
	;; [unrolled: 1-line block ×4, first 2 shown]
	ds_store_b64 v110, v[80:81] offset:2352
	ds_store_2addr_b64 v196, v[68:69], v[88:89] offset0:76 offset1:125
	ds_store_2addr_b64 v197, v[70:71], v[90:91] offset0:163 offset1:212
	;; [unrolled: 1-line block ×5, first 2 shown]
	v_add_nc_u32_e32 v2, 0x4400, v110
	ds_store_2addr_b64 v2, v[4:5], v[0:1] offset0:127 offset1:176
	s_waitcnt lgkmcnt(0)
	s_barrier
	buffer_gl0_inv
	s_clause 0x3
	scratch_load_b64 v[1:2], off, off offset:344
	scratch_load_b64 v[10:11], off, off offset:376
	;; [unrolled: 1-line block ×3, first 2 shown]
	scratch_load_b32 v6, off, off offset:400
	ds_load_2addr_b64 v[12:15], v110 offset1:49
	ds_load_2addr_b64 v[16:19], v196 offset0:174 offset1:223
	s_waitcnt vmcnt(3) lgkmcnt(1)
	v_mul_f32_e32 v0, v2, v13
	v_mov_b32_e32 v3, v2
	v_mov_b32_e32 v2, v1
	s_delay_alu instid0(VALU_DEP_3) | instskip(NEXT) | instid1(VALU_DEP_1)
	v_fmac_f32_e32 v0, v1, v12
	v_cvt_f64_f32_e32 v[0:1], v0
	s_delay_alu instid0(VALU_DEP_1) | instskip(NEXT) | instid1(VALU_DEP_1)
	v_mul_f64 v[0:1], v[0:1], s[2:3]
	v_cvt_f32_f64_e32 v0, v[0:1]
	v_mul_f32_e32 v1, v3, v12
	s_delay_alu instid0(VALU_DEP_1) | instskip(NEXT) | instid1(VALU_DEP_1)
	v_fma_f32 v1, v2, v13, -v1
	v_cvt_f64_f32_e32 v[1:2], v1
	s_delay_alu instid0(VALU_DEP_1) | instskip(NEXT) | instid1(VALU_DEP_1)
	v_mul_f64 v[1:2], v[1:2], s[2:3]
	v_cvt_f32_f64_e32 v1, v[1:2]
	s_waitcnt vmcnt(0)
	v_mad_u64_u32 v[2:3], null, s0, v6, 0
	s_mulk_i32 s0, 0xc138
	s_delay_alu instid0(VALU_DEP_1) | instskip(SKIP_2) | instid1(SALU_CYCLE_1)
	v_mad_u64_u32 v[4:5], null, s1, v6, v[3:4]
	ds_load_2addr_b64 v[6:9], v194 offset0:38 offset1:87
	s_mulk_i32 s1, 0xc138
	s_add_i32 s1, s6, s1
	v_mov_b32_e32 v3, v4
	scratch_load_b64 v[4:5], off, off offset:336 ; 8-byte Folded Reload
	v_lshlrev_b64 v[2:3], 3, v[2:3]
	s_waitcnt vmcnt(0)
	v_lshlrev_b64 v[4:5], 3, v[4:5]
	s_delay_alu instid0(VALU_DEP_1) | instskip(NEXT) | instid1(VALU_DEP_2)
	v_add_co_u32 v4, vcc_lo, s12, v4
	v_add_co_ci_u32_e32 v5, vcc_lo, s13, v5, vcc_lo
	s_delay_alu instid0(VALU_DEP_2) | instskip(NEXT) | instid1(VALU_DEP_2)
	v_add_co_u32 v2, vcc_lo, v4, v2
	v_add_co_ci_u32_e32 v3, vcc_lo, v5, v3, vcc_lo
	scratch_load_b64 v[4:5], off, off offset:352 ; 8-byte Folded Reload
	global_store_b64 v[2:3], v[0:1], off
	v_add_co_u32 v2, vcc_lo, v2, s5
	v_add_co_ci_u32_e32 v3, vcc_lo, s4, v3, vcc_lo
	s_waitcnt vmcnt(0) lgkmcnt(0)
	v_mul_f32_e32 v0, v5, v9
	s_delay_alu instid0(VALU_DEP_1) | instskip(NEXT) | instid1(VALU_DEP_1)
	v_fmac_f32_e32 v0, v4, v8
	v_cvt_f64_f32_e32 v[0:1], v0
	s_delay_alu instid0(VALU_DEP_1) | instskip(NEXT) | instid1(VALU_DEP_1)
	v_mul_f64 v[0:1], v[0:1], s[2:3]
	v_cvt_f32_f64_e32 v0, v[0:1]
	v_mul_f32_e32 v1, v5, v8
	s_delay_alu instid0(VALU_DEP_1) | instskip(NEXT) | instid1(VALU_DEP_1)
	v_fma_f32 v1, v4, v9, -v1
	v_cvt_f64_f32_e32 v[4:5], v1
	s_delay_alu instid0(VALU_DEP_1) | instskip(NEXT) | instid1(VALU_DEP_1)
	v_mul_f64 v[4:5], v[4:5], s[2:3]
	v_cvt_f32_f64_e32 v1, v[4:5]
	scratch_load_b64 v[4:5], off, off offset:360 ; 8-byte Folded Reload
	global_store_b64 v[2:3], v[0:1], off
	s_waitcnt vmcnt(0)
	v_mul_f32_e32 v0, v5, v17
	s_delay_alu instid0(VALU_DEP_1) | instskip(NEXT) | instid1(VALU_DEP_1)
	v_fmac_f32_e32 v0, v4, v16
	v_cvt_f64_f32_e32 v[0:1], v0
	s_delay_alu instid0(VALU_DEP_1) | instskip(NEXT) | instid1(VALU_DEP_1)
	v_mul_f64 v[0:1], v[0:1], s[2:3]
	v_cvt_f32_f64_e32 v0, v[0:1]
	v_mul_f32_e32 v1, v5, v16
	s_delay_alu instid0(VALU_DEP_1) | instskip(SKIP_2) | instid1(VALU_DEP_1)
	v_fma_f32 v1, v4, v17, -v1
	scratch_load_b64 v[16:17], off, off offset:384 ; 8-byte Folded Reload
	v_cvt_f64_f32_e32 v[4:5], v1
	v_mul_f64 v[4:5], v[4:5], s[2:3]
	s_delay_alu instid0(VALU_DEP_1)
	v_cvt_f32_f64_e32 v1, v[4:5]
	v_add_co_u32 v4, vcc_lo, v2, s5
	v_add_co_ci_u32_e32 v5, vcc_lo, s4, v3, vcc_lo
	global_store_b64 v[4:5], v[0:1], off
	ds_load_2addr_b64 v[0:3], v216 offset0:84 offset1:133
	s_waitcnt lgkmcnt(0)
	v_mul_f32_e32 v8, v11, v3
	s_delay_alu instid0(VALU_DEP_1) | instskip(SKIP_1) | instid1(VALU_DEP_2)
	v_fmac_f32_e32 v8, v10, v2
	v_mul_f32_e32 v2, v11, v2
	v_cvt_f64_f32_e32 v[8:9], v8
	s_delay_alu instid0(VALU_DEP_2) | instskip(SKIP_3) | instid1(VALU_DEP_2)
	v_fma_f32 v2, v10, v3, -v2
	ds_load_2addr_b64 v[10:13], v199 offset0:92 offset1:141
	v_cvt_f64_f32_e32 v[2:3], v2
	v_mul_f64 v[8:9], v[8:9], s[2:3]
	v_mul_f64 v[2:3], v[2:3], s[2:3]
	s_delay_alu instid0(VALU_DEP_2) | instskip(NEXT) | instid1(VALU_DEP_2)
	v_cvt_f32_f64_e32 v8, v[8:9]
	v_cvt_f32_f64_e32 v9, v[2:3]
	v_add_co_u32 v2, vcc_lo, v4, s5
	v_add_co_ci_u32_e32 v3, vcc_lo, s4, v5, vcc_lo
	global_store_b64 v[2:3], v[8:9], off
	scratch_load_b64 v[8:9], off, off offset:368 ; 8-byte Folded Reload
	s_waitcnt vmcnt(0) lgkmcnt(0)
	v_mul_f32_e32 v4, v9, v11
	s_delay_alu instid0(VALU_DEP_1) | instskip(NEXT) | instid1(VALU_DEP_1)
	v_fmac_f32_e32 v4, v8, v10
	v_cvt_f64_f32_e32 v[4:5], v4
	s_delay_alu instid0(VALU_DEP_1) | instskip(NEXT) | instid1(VALU_DEP_1)
	v_mul_f64 v[4:5], v[4:5], s[2:3]
	v_cvt_f32_f64_e32 v4, v[4:5]
	v_mul_f32_e32 v5, v9, v10
	s_delay_alu instid0(VALU_DEP_1) | instskip(NEXT) | instid1(VALU_DEP_1)
	v_fma_f32 v5, v8, v11, -v5
	v_cvt_f64_f32_e32 v[8:9], v5
	s_delay_alu instid0(VALU_DEP_1) | instskip(NEXT) | instid1(VALU_DEP_1)
	v_mul_f64 v[8:9], v[8:9], s[2:3]
	v_cvt_f32_f64_e32 v5, v[8:9]
	v_add_co_u32 v8, vcc_lo, v2, s5
	v_add_co_ci_u32_e32 v9, vcc_lo, s4, v3, vcc_lo
	global_store_b64 v[8:9], v[4:5], off
	ds_load_2addr_b64 v[2:5], v193 offset0:130 offset1:179
	s_waitcnt lgkmcnt(0)
	v_mul_f32_e32 v10, v17, v5
	s_delay_alu instid0(VALU_DEP_1) | instskip(SKIP_1) | instid1(VALU_DEP_2)
	v_fmac_f32_e32 v10, v16, v4
	v_mul_f32_e32 v4, v17, v4
	v_cvt_f64_f32_e32 v[10:11], v10
	s_delay_alu instid0(VALU_DEP_2) | instskip(NEXT) | instid1(VALU_DEP_1)
	v_fma_f32 v4, v16, v5, -v4
	v_cvt_f64_f32_e32 v[4:5], v4
	s_delay_alu instid0(VALU_DEP_3) | instskip(NEXT) | instid1(VALU_DEP_2)
	v_mul_f64 v[10:11], v[10:11], s[2:3]
	v_mul_f64 v[4:5], v[4:5], s[2:3]
	s_delay_alu instid0(VALU_DEP_2) | instskip(NEXT) | instid1(VALU_DEP_2)
	v_cvt_f32_f64_e32 v10, v[10:11]
	v_cvt_f32_f64_e32 v11, v[4:5]
	v_add_co_u32 v4, vcc_lo, v8, s5
	v_add_co_ci_u32_e32 v5, vcc_lo, s4, v9, vcc_lo
	global_store_b64 v[4:5], v[10:11], off
	ds_load_2addr_b64 v[8:11], v192 offset0:10 offset1:59
	v_add_co_u32 v4, vcc_lo, v4, s5
	v_add_co_ci_u32_e32 v5, vcc_lo, s4, v5, vcc_lo
	s_waitcnt lgkmcnt(0)
	v_mul_f32_e32 v16, v21, v9
	s_delay_alu instid0(VALU_DEP_1) | instskip(SKIP_1) | instid1(VALU_DEP_2)
	v_fmac_f32_e32 v16, v20, v8
	v_mul_f32_e32 v8, v21, v8
	v_cvt_f64_f32_e32 v[16:17], v16
	s_delay_alu instid0(VALU_DEP_2) | instskip(SKIP_3) | instid1(VALU_DEP_2)
	v_fma_f32 v8, v20, v9, -v8
	scratch_load_b64 v[20:21], off, off offset:320 ; 8-byte Folded Reload
	v_cvt_f64_f32_e32 v[8:9], v8
	v_mul_f64 v[16:17], v[16:17], s[2:3]
	v_mul_f64 v[8:9], v[8:9], s[2:3]
	s_delay_alu instid0(VALU_DEP_2) | instskip(NEXT) | instid1(VALU_DEP_2)
	v_cvt_f32_f64_e32 v16, v[16:17]
	v_cvt_f32_f64_e32 v17, v[8:9]
	global_store_b64 v[4:5], v[16:17], off
	scratch_load_b64 v[16:17], off, off offset:328 ; 8-byte Folded Reload
	v_add_co_u32 v4, vcc_lo, v4, s0
	v_add_co_ci_u32_e32 v5, vcc_lo, s1, v5, vcc_lo
	s_waitcnt vmcnt(0)
	v_mul_f32_e32 v8, v17, v15
	s_delay_alu instid0(VALU_DEP_1) | instskip(NEXT) | instid1(VALU_DEP_1)
	v_fmac_f32_e32 v8, v16, v14
	v_cvt_f64_f32_e32 v[8:9], v8
	s_delay_alu instid0(VALU_DEP_1) | instskip(NEXT) | instid1(VALU_DEP_1)
	v_mul_f64 v[8:9], v[8:9], s[2:3]
	v_cvt_f32_f64_e32 v8, v[8:9]
	v_mul_f32_e32 v9, v17, v14
	s_delay_alu instid0(VALU_DEP_1) | instskip(NEXT) | instid1(VALU_DEP_1)
	v_fma_f32 v9, v16, v15, -v9
	v_cvt_f64_f32_e32 v[14:15], v9
	s_delay_alu instid0(VALU_DEP_1) | instskip(NEXT) | instid1(VALU_DEP_1)
	v_mul_f64 v[14:15], v[14:15], s[2:3]
	v_cvt_f32_f64_e32 v9, v[14:15]
	ds_load_2addr_b64 v[14:17], v194 offset0:136 offset1:185
	global_store_b64 v[4:5], v[8:9], off
	s_waitcnt lgkmcnt(0)
	v_mul_f32_e32 v8, v21, v15
	v_add_co_u32 v4, vcc_lo, v4, s5
	v_add_co_ci_u32_e32 v5, vcc_lo, s4, v5, vcc_lo
	s_delay_alu instid0(VALU_DEP_3) | instskip(NEXT) | instid1(VALU_DEP_1)
	v_fmac_f32_e32 v8, v20, v14
	v_cvt_f64_f32_e32 v[8:9], v8
	s_delay_alu instid0(VALU_DEP_1) | instskip(NEXT) | instid1(VALU_DEP_1)
	v_mul_f64 v[8:9], v[8:9], s[2:3]
	v_cvt_f32_f64_e32 v8, v[8:9]
	v_mul_f32_e32 v9, v21, v14
	s_delay_alu instid0(VALU_DEP_1) | instskip(NEXT) | instid1(VALU_DEP_1)
	v_fma_f32 v9, v20, v15, -v9
	v_cvt_f64_f32_e32 v[14:15], v9
	s_delay_alu instid0(VALU_DEP_1) | instskip(NEXT) | instid1(VALU_DEP_1)
	v_mul_f64 v[14:15], v[14:15], s[2:3]
	v_cvt_f32_f64_e32 v9, v[14:15]
	scratch_load_b64 v[14:15], off, off offset:312 ; 8-byte Folded Reload
	global_store_b64 v[4:5], v[8:9], off
	v_add_co_u32 v4, vcc_lo, v4, s5
	v_add_co_ci_u32_e32 v5, vcc_lo, s4, v5, vcc_lo
	s_waitcnt vmcnt(0)
	v_mul_f32_e32 v8, v15, v19
	s_delay_alu instid0(VALU_DEP_1) | instskip(NEXT) | instid1(VALU_DEP_1)
	v_fmac_f32_e32 v8, v14, v18
	v_cvt_f64_f32_e32 v[8:9], v8
	s_delay_alu instid0(VALU_DEP_1) | instskip(NEXT) | instid1(VALU_DEP_1)
	v_mul_f64 v[8:9], v[8:9], s[2:3]
	v_cvt_f32_f64_e32 v8, v[8:9]
	v_mul_f32_e32 v9, v15, v18
	s_delay_alu instid0(VALU_DEP_1) | instskip(SKIP_2) | instid1(VALU_DEP_1)
	v_fma_f32 v9, v14, v19, -v9
	ds_load_2addr_b64 v[18:21], v198 offset0:54 offset1:103
	v_cvt_f64_f32_e32 v[14:15], v9
	v_mul_f64 v[14:15], v[14:15], s[2:3]
	s_delay_alu instid0(VALU_DEP_1)
	v_cvt_f32_f64_e32 v9, v[14:15]
	scratch_load_b64 v[14:15], off, off offset:304 ; 8-byte Folded Reload
	global_store_b64 v[4:5], v[8:9], off
	v_add_co_u32 v4, vcc_lo, v4, s5
	v_add_co_ci_u32_e32 v5, vcc_lo, s4, v5, vcc_lo
	s_waitcnt vmcnt(0) lgkmcnt(0)
	v_mul_f32_e32 v8, v15, v19
	s_delay_alu instid0(VALU_DEP_1) | instskip(NEXT) | instid1(VALU_DEP_1)
	v_fmac_f32_e32 v8, v14, v18
	v_cvt_f64_f32_e32 v[8:9], v8
	s_delay_alu instid0(VALU_DEP_1) | instskip(NEXT) | instid1(VALU_DEP_1)
	v_mul_f64 v[8:9], v[8:9], s[2:3]
	v_cvt_f32_f64_e32 v8, v[8:9]
	v_mul_f32_e32 v9, v15, v18
	s_delay_alu instid0(VALU_DEP_1) | instskip(SKIP_2) | instid1(VALU_DEP_1)
	v_fma_f32 v9, v14, v19, -v9
	scratch_load_b64 v[18:19], off, off offset:280 ; 8-byte Folded Reload
	v_cvt_f64_f32_e32 v[14:15], v9
	v_mul_f64 v[14:15], v[14:15], s[2:3]
	s_delay_alu instid0(VALU_DEP_1)
	v_cvt_f32_f64_e32 v9, v[14:15]
	scratch_load_b64 v[14:15], off, off offset:296 ; 8-byte Folded Reload
	global_store_b64 v[4:5], v[8:9], off
	v_add_co_u32 v4, vcc_lo, v4, s5
	v_add_co_ci_u32_e32 v5, vcc_lo, s4, v5, vcc_lo
	s_waitcnt vmcnt(0)
	v_mul_f32_e32 v8, v15, v13
	s_delay_alu instid0(VALU_DEP_1) | instskip(NEXT) | instid1(VALU_DEP_1)
	v_fmac_f32_e32 v8, v14, v12
	v_cvt_f64_f32_e32 v[8:9], v8
	s_delay_alu instid0(VALU_DEP_1) | instskip(NEXT) | instid1(VALU_DEP_1)
	v_mul_f64 v[8:9], v[8:9], s[2:3]
	v_cvt_f32_f64_e32 v8, v[8:9]
	v_mul_f32_e32 v9, v15, v12
	s_delay_alu instid0(VALU_DEP_1) | instskip(NEXT) | instid1(VALU_DEP_1)
	v_fma_f32 v9, v14, v13, -v9
	v_cvt_f64_f32_e32 v[12:13], v9
	s_delay_alu instid0(VALU_DEP_1) | instskip(NEXT) | instid1(VALU_DEP_1)
	v_mul_f64 v[12:13], v[12:13], s[2:3]
	v_cvt_f32_f64_e32 v9, v[12:13]
	ds_load_2addr_b64 v[12:15], v218 offset0:100 offset1:149
	global_store_b64 v[4:5], v[8:9], off
	s_waitcnt lgkmcnt(0)
	v_mul_f32_e32 v8, v19, v13
	v_add_co_u32 v4, vcc_lo, v4, s5
	v_add_co_ci_u32_e32 v5, vcc_lo, s4, v5, vcc_lo
	s_delay_alu instid0(VALU_DEP_3) | instskip(NEXT) | instid1(VALU_DEP_1)
	v_fmac_f32_e32 v8, v18, v12
	v_cvt_f64_f32_e32 v[8:9], v8
	s_delay_alu instid0(VALU_DEP_1) | instskip(NEXT) | instid1(VALU_DEP_1)
	v_mul_f64 v[8:9], v[8:9], s[2:3]
	v_cvt_f32_f64_e32 v8, v[8:9]
	v_mul_f32_e32 v9, v19, v12
	s_delay_alu instid0(VALU_DEP_1) | instskip(SKIP_2) | instid1(VALU_DEP_1)
	v_fma_f32 v9, v18, v13, -v9
	scratch_load_b64 v[18:19], off, off offset:200 ; 8-byte Folded Reload
	v_cvt_f64_f32_e32 v[12:13], v9
	v_mul_f64 v[12:13], v[12:13], s[2:3]
	s_delay_alu instid0(VALU_DEP_1)
	v_cvt_f32_f64_e32 v9, v[12:13]
	scratch_load_b64 v[12:13], off, off offset:208 ; 8-byte Folded Reload
	global_store_b64 v[4:5], v[8:9], off
	v_add_co_u32 v4, vcc_lo, v4, s5
	v_add_co_ci_u32_e32 v5, vcc_lo, s4, v5, vcc_lo
	s_waitcnt vmcnt(0)
	v_mul_f32_e32 v8, v13, v11
	s_delay_alu instid0(VALU_DEP_1) | instskip(NEXT) | instid1(VALU_DEP_1)
	v_fmac_f32_e32 v8, v12, v10
	v_cvt_f64_f32_e32 v[8:9], v8
	s_delay_alu instid0(VALU_DEP_1) | instskip(NEXT) | instid1(VALU_DEP_1)
	v_mul_f64 v[8:9], v[8:9], s[2:3]
	v_cvt_f32_f64_e32 v8, v[8:9]
	v_mul_f32_e32 v9, v13, v10
	s_delay_alu instid0(VALU_DEP_1) | instskip(NEXT) | instid1(VALU_DEP_1)
	v_fma_f32 v9, v12, v11, -v9
	v_cvt_f64_f32_e32 v[9:10], v9
	s_delay_alu instid0(VALU_DEP_1) | instskip(NEXT) | instid1(VALU_DEP_1)
	v_mul_f64 v[9:10], v[9:10], s[2:3]
	v_cvt_f32_f64_e32 v9, v[9:10]
	global_store_b64 v[4:5], v[8:9], off
	ds_load_2addr_b64 v[8:11], v110 offset0:98 offset1:147
	v_add_co_u32 v4, vcc_lo, v4, s0
	v_add_co_ci_u32_e32 v5, vcc_lo, s1, v5, vcc_lo
	s_waitcnt lgkmcnt(0)
	v_mul_f32_e32 v12, v19, v9
	s_delay_alu instid0(VALU_DEP_1) | instskip(SKIP_1) | instid1(VALU_DEP_2)
	v_fmac_f32_e32 v12, v18, v8
	v_mul_f32_e32 v8, v19, v8
	v_cvt_f64_f32_e32 v[12:13], v12
	s_delay_alu instid0(VALU_DEP_2) | instskip(NEXT) | instid1(VALU_DEP_1)
	v_fma_f32 v8, v18, v9, -v8
	v_cvt_f64_f32_e32 v[8:9], v8
	s_delay_alu instid0(VALU_DEP_3) | instskip(NEXT) | instid1(VALU_DEP_2)
	v_mul_f64 v[12:13], v[12:13], s[2:3]
	v_mul_f64 v[8:9], v[8:9], s[2:3]
	s_delay_alu instid0(VALU_DEP_2) | instskip(NEXT) | instid1(VALU_DEP_2)
	v_cvt_f32_f64_e32 v12, v[12:13]
	v_cvt_f32_f64_e32 v13, v[8:9]
	global_store_b64 v[4:5], v[12:13], off
	scratch_load_b64 v[12:13], off, off offset:248 ; 8-byte Folded Reload
	v_add_co_u32 v4, vcc_lo, v4, s5
	v_add_co_ci_u32_e32 v5, vcc_lo, s4, v5, vcc_lo
	s_waitcnt vmcnt(0)
	v_mul_f32_e32 v8, v13, v17
	s_delay_alu instid0(VALU_DEP_1) | instskip(NEXT) | instid1(VALU_DEP_1)
	v_fmac_f32_e32 v8, v12, v16
	v_cvt_f64_f32_e32 v[8:9], v8
	s_delay_alu instid0(VALU_DEP_1) | instskip(NEXT) | instid1(VALU_DEP_1)
	v_mul_f64 v[8:9], v[8:9], s[2:3]
	v_cvt_f32_f64_e32 v8, v[8:9]
	v_mul_f32_e32 v9, v13, v16
	s_delay_alu instid0(VALU_DEP_1) | instskip(SKIP_2) | instid1(VALU_DEP_1)
	v_fma_f32 v9, v12, v17, -v9
	ds_load_2addr_b64 v[16:19], v197 offset0:16 offset1:65
	v_cvt_f64_f32_e32 v[12:13], v9
	v_mul_f64 v[12:13], v[12:13], s[2:3]
	s_delay_alu instid0(VALU_DEP_1)
	v_cvt_f32_f64_e32 v9, v[12:13]
	scratch_load_b64 v[12:13], off, off offset:288 ; 8-byte Folded Reload
	global_store_b64 v[4:5], v[8:9], off
	v_add_co_u32 v4, vcc_lo, v4, s5
	v_add_co_ci_u32_e32 v5, vcc_lo, s4, v5, vcc_lo
	s_waitcnt vmcnt(0) lgkmcnt(0)
	v_mul_f32_e32 v8, v13, v17
	s_delay_alu instid0(VALU_DEP_1) | instskip(NEXT) | instid1(VALU_DEP_1)
	v_fmac_f32_e32 v8, v12, v16
	v_cvt_f64_f32_e32 v[8:9], v8
	s_delay_alu instid0(VALU_DEP_1) | instskip(NEXT) | instid1(VALU_DEP_1)
	v_mul_f64 v[8:9], v[8:9], s[2:3]
	v_cvt_f32_f64_e32 v8, v[8:9]
	v_mul_f32_e32 v9, v13, v16
	s_delay_alu instid0(VALU_DEP_1) | instskip(SKIP_2) | instid1(VALU_DEP_1)
	v_fma_f32 v9, v12, v17, -v9
	scratch_load_b64 v[16:17], off, off offset:176 ; 8-byte Folded Reload
	v_cvt_f64_f32_e32 v[12:13], v9
	v_mul_f64 v[12:13], v[12:13], s[2:3]
	s_delay_alu instid0(VALU_DEP_1)
	v_cvt_f32_f64_e32 v9, v[12:13]
	scratch_load_b64 v[12:13], off, off offset:256 ; 8-byte Folded Reload
	global_store_b64 v[4:5], v[8:9], off
	v_add_co_u32 v4, vcc_lo, v4, s5
	v_add_co_ci_u32_e32 v5, vcc_lo, s4, v5, vcc_lo
	s_waitcnt vmcnt(0)
	v_mul_f32_e32 v8, v13, v21
	s_delay_alu instid0(VALU_DEP_1) | instskip(NEXT) | instid1(VALU_DEP_1)
	v_fmac_f32_e32 v8, v12, v20
	v_cvt_f64_f32_e32 v[8:9], v8
	s_delay_alu instid0(VALU_DEP_1) | instskip(NEXT) | instid1(VALU_DEP_1)
	v_mul_f64 v[8:9], v[8:9], s[2:3]
	v_cvt_f32_f64_e32 v8, v[8:9]
	v_mul_f32_e32 v9, v13, v20
	s_delay_alu instid0(VALU_DEP_1) | instskip(SKIP_2) | instid1(VALU_DEP_1)
	v_fma_f32 v9, v12, v21, -v9
	ds_load_2addr_b64 v[20:23], v199 offset0:190 offset1:239
	v_cvt_f64_f32_e32 v[12:13], v9
	v_mul_f64 v[12:13], v[12:13], s[2:3]
	s_delay_alu instid0(VALU_DEP_1)
	v_cvt_f32_f64_e32 v9, v[12:13]
	scratch_load_b64 v[12:13], off, off offset:264 ; 8-byte Folded Reload
	global_store_b64 v[4:5], v[8:9], off
	v_add_co_u32 v4, vcc_lo, v4, s5
	v_add_co_ci_u32_e32 v5, vcc_lo, s4, v5, vcc_lo
	s_waitcnt vmcnt(0) lgkmcnt(0)
	v_mul_f32_e32 v8, v13, v21
	s_delay_alu instid0(VALU_DEP_1) | instskip(NEXT) | instid1(VALU_DEP_1)
	v_fmac_f32_e32 v8, v12, v20
	v_cvt_f64_f32_e32 v[8:9], v8
	s_delay_alu instid0(VALU_DEP_1) | instskip(NEXT) | instid1(VALU_DEP_1)
	v_mul_f64 v[8:9], v[8:9], s[2:3]
	v_cvt_f32_f64_e32 v8, v[8:9]
	v_mul_f32_e32 v9, v13, v20
	s_delay_alu instid0(VALU_DEP_1) | instskip(NEXT) | instid1(VALU_DEP_1)
	v_fma_f32 v9, v12, v21, -v9
	v_cvt_f64_f32_e32 v[12:13], v9
	s_delay_alu instid0(VALU_DEP_1) | instskip(NEXT) | instid1(VALU_DEP_1)
	v_mul_f64 v[12:13], v[12:13], s[2:3]
	v_cvt_f32_f64_e32 v9, v[12:13]
	scratch_load_b64 v[12:13], off, off offset:184 ; 8-byte Folded Reload
	global_store_b64 v[4:5], v[8:9], off
	v_add_co_u32 v4, vcc_lo, v4, s5
	v_add_co_ci_u32_e32 v5, vcc_lo, s4, v5, vcc_lo
	s_waitcnt vmcnt(0)
	v_mul_f32_e32 v8, v13, v15
	s_delay_alu instid0(VALU_DEP_1) | instskip(NEXT) | instid1(VALU_DEP_1)
	v_fmac_f32_e32 v8, v12, v14
	v_cvt_f64_f32_e32 v[8:9], v8
	s_delay_alu instid0(VALU_DEP_1) | instskip(NEXT) | instid1(VALU_DEP_1)
	v_mul_f64 v[8:9], v[8:9], s[2:3]
	v_cvt_f32_f64_e32 v8, v[8:9]
	v_mul_f32_e32 v9, v13, v14
	s_delay_alu instid0(VALU_DEP_1) | instskip(NEXT) | instid1(VALU_DEP_1)
	v_fma_f32 v9, v12, v15, -v9
	v_cvt_f64_f32_e32 v[12:13], v9
	s_delay_alu instid0(VALU_DEP_1) | instskip(NEXT) | instid1(VALU_DEP_1)
	v_mul_f64 v[12:13], v[12:13], s[2:3]
	v_cvt_f32_f64_e32 v9, v[12:13]
	ds_load_2addr_b64 v[12:15], v192 offset0:108 offset1:157
	global_store_b64 v[4:5], v[8:9], off
	s_waitcnt lgkmcnt(0)
	v_mul_f32_e32 v8, v17, v13
	v_add_co_u32 v4, vcc_lo, v4, s5
	v_add_co_ci_u32_e32 v5, vcc_lo, s4, v5, vcc_lo
	s_delay_alu instid0(VALU_DEP_3) | instskip(NEXT) | instid1(VALU_DEP_1)
	v_fmac_f32_e32 v8, v16, v12
	v_cvt_f64_f32_e32 v[8:9], v8
	s_delay_alu instid0(VALU_DEP_1) | instskip(NEXT) | instid1(VALU_DEP_1)
	v_mul_f64 v[8:9], v[8:9], s[2:3]
	v_cvt_f32_f64_e32 v8, v[8:9]
	v_mul_f32_e32 v9, v17, v12
	s_delay_alu instid0(VALU_DEP_1) | instskip(SKIP_2) | instid1(VALU_DEP_1)
	v_fma_f32 v9, v16, v13, -v9
	scratch_load_b64 v[16:17], off, off offset:232 ; 8-byte Folded Reload
	v_cvt_f64_f32_e32 v[12:13], v9
	v_mul_f64 v[12:13], v[12:13], s[2:3]
	s_delay_alu instid0(VALU_DEP_1)
	v_cvt_f32_f64_e32 v9, v[12:13]
	scratch_load_b64 v[12:13], off, off offset:240 ; 8-byte Folded Reload
	global_store_b64 v[4:5], v[8:9], off
	v_add_co_u32 v4, vcc_lo, v4, s0
	v_add_co_ci_u32_e32 v5, vcc_lo, s1, v5, vcc_lo
	s_waitcnt vmcnt(0)
	v_mul_f32_e32 v8, v13, v11
	s_delay_alu instid0(VALU_DEP_1) | instskip(NEXT) | instid1(VALU_DEP_1)
	v_fmac_f32_e32 v8, v12, v10
	v_cvt_f64_f32_e32 v[8:9], v8
	s_delay_alu instid0(VALU_DEP_1) | instskip(NEXT) | instid1(VALU_DEP_1)
	v_mul_f64 v[8:9], v[8:9], s[2:3]
	v_cvt_f32_f64_e32 v8, v[8:9]
	v_mul_f32_e32 v9, v13, v10
	s_delay_alu instid0(VALU_DEP_1) | instskip(NEXT) | instid1(VALU_DEP_1)
	v_fma_f32 v9, v12, v11, -v9
	v_cvt_f64_f32_e32 v[9:10], v9
	s_delay_alu instid0(VALU_DEP_1) | instskip(NEXT) | instid1(VALU_DEP_1)
	v_mul_f64 v[9:10], v[9:10], s[2:3]
	v_cvt_f32_f64_e32 v9, v[9:10]
	global_store_b64 v[4:5], v[8:9], off
	ds_load_2addr_b64 v[8:11], v123 offset0:106 offset1:155
	v_add_co_u32 v4, vcc_lo, v4, s5
	v_add_co_ci_u32_e32 v5, vcc_lo, s4, v5, vcc_lo
	s_waitcnt lgkmcnt(0)
	v_mul_f32_e32 v12, v17, v9
	s_delay_alu instid0(VALU_DEP_1) | instskip(SKIP_1) | instid1(VALU_DEP_2)
	v_fmac_f32_e32 v12, v16, v8
	v_mul_f32_e32 v8, v17, v8
	v_cvt_f64_f32_e32 v[12:13], v12
	s_delay_alu instid0(VALU_DEP_2) | instskip(NEXT) | instid1(VALU_DEP_1)
	v_fma_f32 v8, v16, v9, -v8
	v_cvt_f64_f32_e32 v[8:9], v8
	s_delay_alu instid0(VALU_DEP_3) | instskip(NEXT) | instid1(VALU_DEP_2)
	v_mul_f64 v[12:13], v[12:13], s[2:3]
	v_mul_f64 v[8:9], v[8:9], s[2:3]
	s_delay_alu instid0(VALU_DEP_2) | instskip(NEXT) | instid1(VALU_DEP_2)
	v_cvt_f32_f64_e32 v12, v[12:13]
	v_cvt_f32_f64_e32 v13, v[8:9]
	global_store_b64 v[4:5], v[12:13], off
	scratch_load_b64 v[12:13], off, off offset:192 ; 8-byte Folded Reload
	v_add_co_u32 v4, vcc_lo, v4, s5
	v_add_co_ci_u32_e32 v5, vcc_lo, s4, v5, vcc_lo
	s_waitcnt vmcnt(0)
	v_mul_f32_e32 v8, v13, v19
	s_delay_alu instid0(VALU_DEP_1) | instskip(NEXT) | instid1(VALU_DEP_1)
	v_fmac_f32_e32 v8, v12, v18
	v_cvt_f64_f32_e32 v[8:9], v8
	s_delay_alu instid0(VALU_DEP_1) | instskip(NEXT) | instid1(VALU_DEP_1)
	v_mul_f64 v[8:9], v[8:9], s[2:3]
	v_cvt_f32_f64_e32 v8, v[8:9]
	v_mul_f32_e32 v9, v13, v18
	s_delay_alu instid0(VALU_DEP_1) | instskip(SKIP_2) | instid1(VALU_DEP_1)
	v_fma_f32 v9, v12, v19, -v9
	ds_load_2addr_b64 v[16:19], v198 offset0:152 offset1:201
	v_cvt_f64_f32_e32 v[12:13], v9
	v_mul_f64 v[12:13], v[12:13], s[2:3]
	s_delay_alu instid0(VALU_DEP_1)
	v_cvt_f32_f64_e32 v9, v[12:13]
	scratch_load_b64 v[12:13], off, off offset:272 ; 8-byte Folded Reload
	global_store_b64 v[4:5], v[8:9], off
	v_add_co_u32 v4, vcc_lo, v4, s5
	v_add_co_ci_u32_e32 v5, vcc_lo, s4, v5, vcc_lo
	s_waitcnt vmcnt(0) lgkmcnt(0)
	v_mul_f32_e32 v8, v13, v17
	s_delay_alu instid0(VALU_DEP_1) | instskip(NEXT) | instid1(VALU_DEP_1)
	v_fmac_f32_e32 v8, v12, v16
	v_cvt_f64_f32_e32 v[8:9], v8
	s_delay_alu instid0(VALU_DEP_1) | instskip(NEXT) | instid1(VALU_DEP_1)
	v_mul_f64 v[8:9], v[8:9], s[2:3]
	v_cvt_f32_f64_e32 v8, v[8:9]
	v_mul_f32_e32 v9, v13, v16
	s_delay_alu instid0(VALU_DEP_1) | instskip(SKIP_2) | instid1(VALU_DEP_1)
	v_fma_f32 v9, v12, v17, -v9
	scratch_load_b64 v[16:17], off, off offset:168 ; 8-byte Folded Reload
	v_cvt_f64_f32_e32 v[12:13], v9
	v_mul_f64 v[12:13], v[12:13], s[2:3]
	s_delay_alu instid0(VALU_DEP_1)
	v_cvt_f32_f64_e32 v9, v[12:13]
	scratch_load_b64 v[12:13], off, off offset:216 ; 8-byte Folded Reload
	global_store_b64 v[4:5], v[8:9], off
	v_add_co_u32 v4, vcc_lo, v4, s5
	v_add_co_ci_u32_e32 v5, vcc_lo, s4, v5, vcc_lo
	s_waitcnt vmcnt(0)
	v_mul_f32_e32 v8, v13, v23
	s_delay_alu instid0(VALU_DEP_1) | instskip(NEXT) | instid1(VALU_DEP_1)
	v_fmac_f32_e32 v8, v12, v22
	v_cvt_f64_f32_e32 v[8:9], v8
	s_delay_alu instid0(VALU_DEP_1) | instskip(NEXT) | instid1(VALU_DEP_1)
	v_mul_f64 v[8:9], v[8:9], s[2:3]
	v_cvt_f32_f64_e32 v8, v[8:9]
	v_mul_f32_e32 v9, v13, v22
	s_delay_alu instid0(VALU_DEP_1) | instskip(SKIP_2) | instid1(VALU_DEP_1)
	v_fma_f32 v9, v12, v23, -v9
	ds_load_2addr_b64 v[20:23], v195 offset0:70 offset1:119
	v_cvt_f64_f32_e32 v[12:13], v9
	v_mul_f64 v[12:13], v[12:13], s[2:3]
	s_delay_alu instid0(VALU_DEP_1)
	v_cvt_f32_f64_e32 v9, v[12:13]
	scratch_load_b64 v[12:13], off, off offset:224 ; 8-byte Folded Reload
	global_store_b64 v[4:5], v[8:9], off
	v_add_co_u32 v4, vcc_lo, v4, s5
	v_add_co_ci_u32_e32 v5, vcc_lo, s4, v5, vcc_lo
	s_waitcnt vmcnt(0) lgkmcnt(0)
	v_mul_f32_e32 v8, v13, v21
	s_delay_alu instid0(VALU_DEP_1) | instskip(NEXT) | instid1(VALU_DEP_1)
	v_fmac_f32_e32 v8, v12, v20
	v_cvt_f64_f32_e32 v[8:9], v8
	s_delay_alu instid0(VALU_DEP_1) | instskip(NEXT) | instid1(VALU_DEP_1)
	v_mul_f64 v[8:9], v[8:9], s[2:3]
	v_cvt_f32_f64_e32 v8, v[8:9]
	v_mul_f32_e32 v9, v13, v20
	s_delay_alu instid0(VALU_DEP_1) | instskip(NEXT) | instid1(VALU_DEP_1)
	v_fma_f32 v9, v12, v21, -v9
	v_cvt_f64_f32_e32 v[12:13], v9
	s_delay_alu instid0(VALU_DEP_1) | instskip(NEXT) | instid1(VALU_DEP_1)
	v_mul_f64 v[12:13], v[12:13], s[2:3]
	v_cvt_f32_f64_e32 v9, v[12:13]
	scratch_load_b64 v[12:13], off, off offset:160 ; 8-byte Folded Reload
	global_store_b64 v[4:5], v[8:9], off
	v_add_co_u32 v4, vcc_lo, v4, s5
	v_add_co_ci_u32_e32 v5, vcc_lo, s4, v5, vcc_lo
	s_waitcnt vmcnt(0)
	v_mul_f32_e32 v8, v13, v15
	s_delay_alu instid0(VALU_DEP_1) | instskip(NEXT) | instid1(VALU_DEP_1)
	v_fmac_f32_e32 v8, v12, v14
	v_cvt_f64_f32_e32 v[8:9], v8
	s_delay_alu instid0(VALU_DEP_1) | instskip(NEXT) | instid1(VALU_DEP_1)
	v_mul_f64 v[8:9], v[8:9], s[2:3]
	v_cvt_f32_f64_e32 v8, v[8:9]
	v_mul_f32_e32 v9, v13, v14
	s_delay_alu instid0(VALU_DEP_1) | instskip(NEXT) | instid1(VALU_DEP_1)
	v_fma_f32 v9, v12, v15, -v9
	v_cvt_f64_f32_e32 v[12:13], v9
	s_delay_alu instid0(VALU_DEP_1) | instskip(NEXT) | instid1(VALU_DEP_1)
	v_mul_f64 v[12:13], v[12:13], s[2:3]
	v_cvt_f32_f64_e32 v9, v[12:13]
	ds_load_2addr_b64 v[12:15], v110 offset0:196 offset1:245
	global_store_b64 v[4:5], v[8:9], off
	s_waitcnt lgkmcnt(0)
	v_mul_f32_e32 v8, v17, v13
	v_add_co_u32 v4, vcc_lo, v4, s0
	v_add_co_ci_u32_e32 v5, vcc_lo, s1, v5, vcc_lo
	s_delay_alu instid0(VALU_DEP_3) | instskip(NEXT) | instid1(VALU_DEP_1)
	v_fmac_f32_e32 v8, v16, v12
	v_cvt_f64_f32_e32 v[8:9], v8
	s_delay_alu instid0(VALU_DEP_1) | instskip(NEXT) | instid1(VALU_DEP_1)
	v_mul_f64 v[8:9], v[8:9], s[2:3]
	v_cvt_f32_f64_e32 v8, v[8:9]
	v_mul_f32_e32 v9, v17, v12
	s_delay_alu instid0(VALU_DEP_1) | instskip(SKIP_2) | instid1(VALU_DEP_1)
	v_fma_f32 v9, v16, v13, -v9
	scratch_load_b64 v[16:17], off, off offset:152 ; 8-byte Folded Reload
	v_cvt_f64_f32_e32 v[12:13], v9
	v_mul_f64 v[12:13], v[12:13], s[2:3]
	s_delay_alu instid0(VALU_DEP_1)
	v_cvt_f32_f64_e32 v9, v[12:13]
	scratch_load_b64 v[12:13], off, off offset:144 ; 8-byte Folded Reload
	global_store_b64 v[4:5], v[8:9], off
	v_add_co_u32 v4, vcc_lo, v4, s5
	v_add_co_ci_u32_e32 v5, vcc_lo, s4, v5, vcc_lo
	s_waitcnt vmcnt(0)
	v_mul_f32_e32 v8, v13, v11
	s_delay_alu instid0(VALU_DEP_1) | instskip(NEXT) | instid1(VALU_DEP_1)
	v_fmac_f32_e32 v8, v12, v10
	v_cvt_f64_f32_e32 v[8:9], v8
	s_delay_alu instid0(VALU_DEP_1) | instskip(NEXT) | instid1(VALU_DEP_1)
	v_mul_f64 v[8:9], v[8:9], s[2:3]
	v_cvt_f32_f64_e32 v8, v[8:9]
	v_mul_f32_e32 v9, v13, v10
	s_delay_alu instid0(VALU_DEP_1) | instskip(NEXT) | instid1(VALU_DEP_1)
	v_fma_f32 v9, v12, v11, -v9
	v_cvt_f64_f32_e32 v[9:10], v9
	s_delay_alu instid0(VALU_DEP_1) | instskip(NEXT) | instid1(VALU_DEP_1)
	v_mul_f64 v[9:10], v[9:10], s[2:3]
	v_cvt_f32_f64_e32 v9, v[9:10]
	ds_load_2addr_b64 v[10:13], v197 offset0:114 offset1:163
	global_store_b64 v[4:5], v[8:9], off
	s_waitcnt lgkmcnt(0)
	v_mul_f32_e32 v8, v17, v11
	v_add_co_u32 v4, vcc_lo, v4, s5
	v_add_co_ci_u32_e32 v5, vcc_lo, s4, v5, vcc_lo
	s_delay_alu instid0(VALU_DEP_3) | instskip(NEXT) | instid1(VALU_DEP_1)
	v_fmac_f32_e32 v8, v16, v10
	v_cvt_f64_f32_e32 v[8:9], v8
	s_delay_alu instid0(VALU_DEP_1) | instskip(NEXT) | instid1(VALU_DEP_1)
	v_mul_f64 v[8:9], v[8:9], s[2:3]
	v_cvt_f32_f64_e32 v8, v[8:9]
	v_mul_f32_e32 v9, v17, v10
	s_delay_alu instid0(VALU_DEP_1) | instskip(NEXT) | instid1(VALU_DEP_1)
	v_fma_f32 v9, v16, v11, -v9
	v_cvt_f64_f32_e32 v[9:10], v9
	s_delay_alu instid0(VALU_DEP_1) | instskip(NEXT) | instid1(VALU_DEP_1)
	v_mul_f64 v[9:10], v[9:10], s[2:3]
	v_cvt_f32_f64_e32 v9, v[9:10]
	scratch_load_b64 v[10:11], off, off offset:128 ; 8-byte Folded Reload
	global_store_b64 v[4:5], v[8:9], off
	v_add_co_u32 v4, vcc_lo, v4, s5
	v_add_co_ci_u32_e32 v5, vcc_lo, s4, v5, vcc_lo
	s_waitcnt vmcnt(0)
	v_mul_f32_e32 v8, v11, v19
	s_delay_alu instid0(VALU_DEP_1) | instskip(NEXT) | instid1(VALU_DEP_1)
	v_fmac_f32_e32 v8, v10, v18
	v_cvt_f64_f32_e32 v[8:9], v8
	s_delay_alu instid0(VALU_DEP_1) | instskip(NEXT) | instid1(VALU_DEP_1)
	v_mul_f64 v[8:9], v[8:9], s[2:3]
	v_cvt_f32_f64_e32 v8, v[8:9]
	v_mul_f32_e32 v9, v11, v18
	s_delay_alu instid0(VALU_DEP_1) | instskip(SKIP_2) | instid1(VALU_DEP_1)
	v_fma_f32 v9, v10, v19, -v9
	ds_load_2addr_b64 v[16:19], v193 offset0:32 offset1:81
	v_cvt_f64_f32_e32 v[9:10], v9
	v_mul_f64 v[9:10], v[9:10], s[2:3]
	s_delay_alu instid0(VALU_DEP_1)
	v_cvt_f32_f64_e32 v9, v[9:10]
	scratch_load_b64 v[10:11], off, off offset:136 ; 8-byte Folded Reload
	global_store_b64 v[4:5], v[8:9], off
	v_add_co_u32 v4, vcc_lo, v4, s5
	v_add_co_ci_u32_e32 v5, vcc_lo, s4, v5, vcc_lo
	s_waitcnt vmcnt(0) lgkmcnt(0)
	v_mul_f32_e32 v8, v11, v17
	s_delay_alu instid0(VALU_DEP_1) | instskip(NEXT) | instid1(VALU_DEP_1)
	v_fmac_f32_e32 v8, v10, v16
	v_cvt_f64_f32_e32 v[8:9], v8
	s_delay_alu instid0(VALU_DEP_1) | instskip(NEXT) | instid1(VALU_DEP_1)
	v_mul_f64 v[8:9], v[8:9], s[2:3]
	v_cvt_f32_f64_e32 v8, v[8:9]
	v_mul_f32_e32 v9, v11, v16
	s_delay_alu instid0(VALU_DEP_1) | instskip(SKIP_2) | instid1(VALU_DEP_1)
	v_fma_f32 v9, v10, v17, -v9
	scratch_load_b64 v[16:17], off, off offset:112 ; 8-byte Folded Reload
	v_cvt_f64_f32_e32 v[9:10], v9
	v_mul_f64 v[9:10], v[9:10], s[2:3]
	s_delay_alu instid0(VALU_DEP_1)
	v_cvt_f32_f64_e32 v9, v[9:10]
	global_store_b64 v[4:5], v[8:9], off
	scratch_load_b64 v[9:10], off, off offset:104 ; 8-byte Folded Reload
	v_add_co_u32 v4, vcc_lo, v4, s5
	v_add_co_ci_u32_e32 v5, vcc_lo, s4, v5, vcc_lo
	s_waitcnt vmcnt(0)
	v_mul_f32_e32 v8, v10, v23
	v_mov_b32_e32 v11, v10
	v_mov_b32_e32 v10, v9
	s_delay_alu instid0(VALU_DEP_3) | instskip(NEXT) | instid1(VALU_DEP_1)
	v_fmac_f32_e32 v8, v9, v22
	v_cvt_f64_f32_e32 v[8:9], v8
	s_delay_alu instid0(VALU_DEP_1) | instskip(NEXT) | instid1(VALU_DEP_1)
	v_mul_f64 v[8:9], v[8:9], s[2:3]
	v_cvt_f32_f64_e32 v8, v[8:9]
	v_mul_f32_e32 v9, v11, v22
	s_delay_alu instid0(VALU_DEP_1) | instskip(SKIP_2) | instid1(VALU_DEP_1)
	v_fma_f32 v9, v10, v23, -v9
	ds_load_2addr_b64 v[20:23], v192 offset0:206 offset1:255
	v_cvt_f64_f32_e32 v[9:10], v9
	v_mul_f64 v[9:10], v[9:10], s[2:3]
	s_delay_alu instid0(VALU_DEP_1)
	v_cvt_f32_f64_e32 v9, v[9:10]
	scratch_load_b64 v[10:11], off, off offset:120 ; 8-byte Folded Reload
	global_store_b64 v[4:5], v[8:9], off
	v_add_co_u32 v4, vcc_lo, v4, s5
	v_add_co_ci_u32_e32 v5, vcc_lo, s4, v5, vcc_lo
	s_waitcnt vmcnt(0) lgkmcnt(0)
	v_mul_f32_e32 v8, v11, v21
	s_delay_alu instid0(VALU_DEP_1) | instskip(NEXT) | instid1(VALU_DEP_1)
	v_fmac_f32_e32 v8, v10, v20
	v_cvt_f64_f32_e32 v[8:9], v8
	s_delay_alu instid0(VALU_DEP_1) | instskip(NEXT) | instid1(VALU_DEP_1)
	v_mul_f64 v[8:9], v[8:9], s[2:3]
	v_cvt_f32_f64_e32 v8, v[8:9]
	v_mul_f32_e32 v9, v11, v20
	s_delay_alu instid0(VALU_DEP_1) | instskip(NEXT) | instid1(VALU_DEP_1)
	v_fma_f32 v9, v10, v21, -v9
	v_cvt_f64_f32_e32 v[9:10], v9
	s_delay_alu instid0(VALU_DEP_1) | instskip(NEXT) | instid1(VALU_DEP_1)
	v_mul_f64 v[9:10], v[9:10], s[2:3]
	v_cvt_f32_f64_e32 v9, v[9:10]
	scratch_load_b64 v[10:11], off, off offset:96 ; 8-byte Folded Reload
	global_store_b64 v[4:5], v[8:9], off
	v_add_co_u32 v4, vcc_lo, v4, s0
	v_add_co_ci_u32_e32 v5, vcc_lo, s1, v5, vcc_lo
	s_waitcnt vmcnt(0)
	v_mul_f32_e32 v8, v11, v15
	s_delay_alu instid0(VALU_DEP_1) | instskip(NEXT) | instid1(VALU_DEP_1)
	v_fmac_f32_e32 v8, v10, v14
	v_cvt_f64_f32_e32 v[8:9], v8
	s_delay_alu instid0(VALU_DEP_1) | instskip(NEXT) | instid1(VALU_DEP_1)
	v_mul_f64 v[8:9], v[8:9], s[2:3]
	v_cvt_f32_f64_e32 v8, v[8:9]
	v_mul_f32_e32 v9, v11, v14
	s_delay_alu instid0(VALU_DEP_1) | instskip(NEXT) | instid1(VALU_DEP_1)
	v_fma_f32 v9, v10, v15, -v9
	v_cvt_f64_f32_e32 v[9:10], v9
	s_delay_alu instid0(VALU_DEP_1) | instskip(NEXT) | instid1(VALU_DEP_1)
	v_mul_f64 v[9:10], v[9:10], s[2:3]
	v_cvt_f32_f64_e32 v9, v[9:10]
	global_store_b64 v[4:5], v[8:9], off
	ds_load_2addr_b64 v[8:11], v196 offset0:76 offset1:125
	v_add_co_u32 v4, vcc_lo, v4, s5
	v_add_co_ci_u32_e32 v5, vcc_lo, s4, v5, vcc_lo
	s_waitcnt lgkmcnt(0)
	v_mul_f32_e32 v14, v17, v9
	s_delay_alu instid0(VALU_DEP_1) | instskip(SKIP_1) | instid1(VALU_DEP_2)
	v_fmac_f32_e32 v14, v16, v8
	v_mul_f32_e32 v8, v17, v8
	v_cvt_f64_f32_e32 v[14:15], v14
	s_delay_alu instid0(VALU_DEP_2) | instskip(SKIP_3) | instid1(VALU_DEP_2)
	v_fma_f32 v8, v16, v9, -v8
	scratch_load_b64 v[16:17], off, off offset:88 ; 8-byte Folded Reload
	v_cvt_f64_f32_e32 v[8:9], v8
	v_mul_f64 v[14:15], v[14:15], s[2:3]
	v_mul_f64 v[8:9], v[8:9], s[2:3]
	s_delay_alu instid0(VALU_DEP_2) | instskip(NEXT) | instid1(VALU_DEP_2)
	v_cvt_f32_f64_e32 v14, v[14:15]
	v_cvt_f32_f64_e32 v15, v[8:9]
	global_store_b64 v[4:5], v[14:15], off
	scratch_load_b64 v[14:15], off, off offset:80 ; 8-byte Folded Reload
	v_add_co_u32 v4, vcc_lo, v4, s5
	v_add_co_ci_u32_e32 v5, vcc_lo, s4, v5, vcc_lo
	s_waitcnt vmcnt(0)
	v_mul_f32_e32 v8, v15, v13
	s_delay_alu instid0(VALU_DEP_1) | instskip(NEXT) | instid1(VALU_DEP_1)
	v_fmac_f32_e32 v8, v14, v12
	v_cvt_f64_f32_e32 v[8:9], v8
	s_delay_alu instid0(VALU_DEP_1) | instskip(NEXT) | instid1(VALU_DEP_1)
	v_mul_f64 v[8:9], v[8:9], s[2:3]
	v_cvt_f32_f64_e32 v8, v[8:9]
	v_mul_f32_e32 v9, v15, v12
	s_delay_alu instid0(VALU_DEP_1) | instskip(NEXT) | instid1(VALU_DEP_1)
	v_fma_f32 v9, v14, v13, -v9
	v_cvt_f64_f32_e32 v[12:13], v9
	s_delay_alu instid0(VALU_DEP_1) | instskip(NEXT) | instid1(VALU_DEP_1)
	v_mul_f64 v[12:13], v[12:13], s[2:3]
	v_cvt_f32_f64_e32 v9, v[12:13]
	ds_load_2addr_b64 v[12:15], v217 offset0:122 offset1:171
	global_store_b64 v[4:5], v[8:9], off
	s_waitcnt lgkmcnt(0)
	v_mul_f32_e32 v8, v17, v13
	v_add_co_u32 v4, vcc_lo, v4, s5
	v_add_co_ci_u32_e32 v5, vcc_lo, s4, v5, vcc_lo
	s_delay_alu instid0(VALU_DEP_3) | instskip(NEXT) | instid1(VALU_DEP_1)
	v_fmac_f32_e32 v8, v16, v12
	v_cvt_f64_f32_e32 v[8:9], v8
	s_delay_alu instid0(VALU_DEP_1) | instskip(NEXT) | instid1(VALU_DEP_1)
	v_mul_f64 v[8:9], v[8:9], s[2:3]
	v_cvt_f32_f64_e32 v8, v[8:9]
	v_mul_f32_e32 v9, v17, v12
	s_delay_alu instid0(VALU_DEP_1) | instskip(NEXT) | instid1(VALU_DEP_1)
	v_fma_f32 v9, v16, v13, -v9
	v_cvt_f64_f32_e32 v[12:13], v9
	s_delay_alu instid0(VALU_DEP_1) | instskip(NEXT) | instid1(VALU_DEP_1)
	v_mul_f64 v[12:13], v[12:13], s[2:3]
	v_cvt_f32_f64_e32 v9, v[12:13]
	scratch_load_b64 v[12:13], off, off offset:64 ; 8-byte Folded Reload
	global_store_b64 v[4:5], v[8:9], off
	v_add_co_u32 v4, vcc_lo, v4, s5
	v_add_co_ci_u32_e32 v5, vcc_lo, s4, v5, vcc_lo
	s_waitcnt vmcnt(0)
	v_mul_f32_e32 v8, v13, v19
	s_delay_alu instid0(VALU_DEP_1) | instskip(NEXT) | instid1(VALU_DEP_1)
	v_fmac_f32_e32 v8, v12, v18
	v_cvt_f64_f32_e32 v[8:9], v8
	s_delay_alu instid0(VALU_DEP_1) | instskip(NEXT) | instid1(VALU_DEP_1)
	v_mul_f64 v[8:9], v[8:9], s[2:3]
	v_cvt_f32_f64_e32 v8, v[8:9]
	v_mul_f32_e32 v9, v13, v18
	s_delay_alu instid0(VALU_DEP_1) | instskip(SKIP_2) | instid1(VALU_DEP_1)
	v_fma_f32 v9, v12, v19, -v9
	ds_load_2addr_b64 v[16:19], v195 offset0:168 offset1:217
	v_cvt_f64_f32_e32 v[12:13], v9
	v_mul_f64 v[12:13], v[12:13], s[2:3]
	s_delay_alu instid0(VALU_DEP_1)
	v_cvt_f32_f64_e32 v9, v[12:13]
	scratch_load_b64 v[12:13], off, off offset:72 ; 8-byte Folded Reload
	global_store_b64 v[4:5], v[8:9], off
	v_add_co_u32 v4, vcc_lo, v4, s5
	v_add_co_ci_u32_e32 v5, vcc_lo, s4, v5, vcc_lo
	s_waitcnt vmcnt(0) lgkmcnt(0)
	v_mul_f32_e32 v8, v13, v17
	s_delay_alu instid0(VALU_DEP_1) | instskip(NEXT) | instid1(VALU_DEP_1)
	v_fmac_f32_e32 v8, v12, v16
	v_cvt_f64_f32_e32 v[8:9], v8
	s_delay_alu instid0(VALU_DEP_1) | instskip(NEXT) | instid1(VALU_DEP_1)
	v_mul_f64 v[8:9], v[8:9], s[2:3]
	v_cvt_f32_f64_e32 v8, v[8:9]
	v_mul_f32_e32 v9, v13, v16
	s_delay_alu instid0(VALU_DEP_1) | instskip(NEXT) | instid1(VALU_DEP_1)
	v_fma_f32 v9, v12, v17, -v9
	v_cvt_f64_f32_e32 v[12:13], v9
	s_delay_alu instid0(VALU_DEP_1) | instskip(NEXT) | instid1(VALU_DEP_1)
	v_mul_f64 v[12:13], v[12:13], s[2:3]
	v_cvt_f32_f64_e32 v9, v[12:13]
	scratch_load_b64 v[12:13], off, off offset:56 ; 8-byte Folded Reload
	global_store_b64 v[4:5], v[8:9], off
	v_add_co_u32 v4, vcc_lo, v4, s5
	v_add_co_ci_u32_e32 v5, vcc_lo, s4, v5, vcc_lo
	s_waitcnt vmcnt(0)
	v_mul_f32_e32 v8, v13, v23
	s_delay_alu instid0(VALU_DEP_1) | instskip(NEXT) | instid1(VALU_DEP_1)
	v_fmac_f32_e32 v8, v12, v22
	v_cvt_f64_f32_e32 v[8:9], v8
	s_delay_alu instid0(VALU_DEP_1) | instskip(NEXT) | instid1(VALU_DEP_1)
	v_mul_f64 v[8:9], v[8:9], s[2:3]
	v_cvt_f32_f64_e32 v8, v[8:9]
	v_mul_f32_e32 v9, v13, v22
	s_delay_alu instid0(VALU_DEP_1) | instskip(NEXT) | instid1(VALU_DEP_1)
	v_fma_f32 v9, v12, v23, -v9
	v_cvt_f64_f32_e32 v[12:13], v9
	s_delay_alu instid0(VALU_DEP_1) | instskip(NEXT) | instid1(VALU_DEP_1)
	v_mul_f64 v[12:13], v[12:13], s[2:3]
	v_cvt_f32_f64_e32 v9, v[12:13]
	scratch_load_b64 v[12:13], off, off offset:24 ; 8-byte Folded Reload
	global_store_b64 v[4:5], v[8:9], off
	v_add_co_u32 v4, vcc_lo, v4, s0
	v_add_co_ci_u32_e32 v5, vcc_lo, s1, v5, vcc_lo
	s_waitcnt vmcnt(0)
	v_mul_f32_e32 v8, v13, v7
	s_delay_alu instid0(VALU_DEP_1) | instskip(SKIP_1) | instid1(VALU_DEP_2)
	v_fmac_f32_e32 v8, v12, v6
	v_mul_f32_e32 v6, v13, v6
	v_cvt_f64_f32_e32 v[8:9], v8
	s_delay_alu instid0(VALU_DEP_2) | instskip(NEXT) | instid1(VALU_DEP_1)
	v_fma_f32 v6, v12, v7, -v6
	v_cvt_f64_f32_e32 v[6:7], v6
	s_delay_alu instid0(VALU_DEP_3) | instskip(NEXT) | instid1(VALU_DEP_2)
	v_mul_f64 v[8:9], v[8:9], s[2:3]
	v_mul_f64 v[6:7], v[6:7], s[2:3]
	s_delay_alu instid0(VALU_DEP_2) | instskip(NEXT) | instid1(VALU_DEP_2)
	v_cvt_f32_f64_e32 v8, v[8:9]
	v_cvt_f32_f64_e32 v9, v[6:7]
	global_store_b64 v[4:5], v[8:9], off
	scratch_load_b64 v[7:8], off, off offset:16 ; 8-byte Folded Reload
	v_add_co_u32 v4, vcc_lo, v4, s5
	v_add_co_ci_u32_e32 v5, vcc_lo, s4, v5, vcc_lo
	s_waitcnt vmcnt(0)
	v_mul_f32_e32 v6, v8, v11
	v_mov_b32_e32 v9, v8
	v_mov_b32_e32 v8, v7
	s_delay_alu instid0(VALU_DEP_3) | instskip(NEXT) | instid1(VALU_DEP_1)
	v_fmac_f32_e32 v6, v7, v10
	v_cvt_f64_f32_e32 v[6:7], v6
	s_delay_alu instid0(VALU_DEP_1) | instskip(NEXT) | instid1(VALU_DEP_1)
	v_mul_f64 v[6:7], v[6:7], s[2:3]
	v_cvt_f32_f64_e32 v6, v[6:7]
	v_mul_f32_e32 v7, v9, v10
	s_delay_alu instid0(VALU_DEP_1) | instskip(NEXT) | instid1(VALU_DEP_1)
	v_fma_f32 v7, v8, v11, -v7
	v_cvt_f64_f32_e32 v[7:8], v7
	s_delay_alu instid0(VALU_DEP_1) | instskip(NEXT) | instid1(VALU_DEP_1)
	v_mul_f64 v[7:8], v[7:8], s[2:3]
	v_cvt_f32_f64_e32 v7, v[7:8]
	global_store_b64 v[4:5], v[6:7], off
	scratch_load_b64 v[7:8], off, off offset:8 ; 8-byte Folded Reload
	s_waitcnt vmcnt(0)
	v_mul_f32_e32 v6, v8, v1
	v_mov_b32_e32 v9, v8
	v_mov_b32_e32 v8, v7
	s_delay_alu instid0(VALU_DEP_3) | instskip(NEXT) | instid1(VALU_DEP_3)
	v_fmac_f32_e32 v6, v7, v0
	v_mul_f32_e32 v0, v9, v0
	s_delay_alu instid0(VALU_DEP_2) | instskip(NEXT) | instid1(VALU_DEP_2)
	v_cvt_f64_f32_e32 v[6:7], v6
	v_fma_f32 v0, v8, v1, -v0
	s_delay_alu instid0(VALU_DEP_1) | instskip(NEXT) | instid1(VALU_DEP_3)
	v_cvt_f64_f32_e32 v[0:1], v0
	v_mul_f64 v[6:7], v[6:7], s[2:3]
	s_delay_alu instid0(VALU_DEP_2) | instskip(NEXT) | instid1(VALU_DEP_2)
	v_mul_f64 v[0:1], v[0:1], s[2:3]
	v_cvt_f32_f64_e32 v6, v[6:7]
	s_delay_alu instid0(VALU_DEP_2)
	v_cvt_f32_f64_e32 v7, v[0:1]
	v_add_co_u32 v0, vcc_lo, v4, s5
	v_add_co_ci_u32_e32 v1, vcc_lo, s4, v5, vcc_lo
	global_store_b64 v[0:1], v[6:7], off
	scratch_load_b64 v[6:7], off, off offset:32 ; 8-byte Folded Reload
	v_add_co_u32 v0, vcc_lo, v0, s5
	v_add_co_ci_u32_e32 v1, vcc_lo, s4, v1, vcc_lo
	s_waitcnt vmcnt(0)
	v_mul_f32_e32 v4, v7, v15
	s_delay_alu instid0(VALU_DEP_1) | instskip(NEXT) | instid1(VALU_DEP_1)
	v_fmac_f32_e32 v4, v6, v14
	v_cvt_f64_f32_e32 v[4:5], v4
	s_delay_alu instid0(VALU_DEP_1) | instskip(NEXT) | instid1(VALU_DEP_1)
	v_mul_f64 v[4:5], v[4:5], s[2:3]
	v_cvt_f32_f64_e32 v4, v[4:5]
	v_mul_f32_e32 v5, v7, v14
	s_delay_alu instid0(VALU_DEP_1) | instskip(NEXT) | instid1(VALU_DEP_1)
	v_fma_f32 v5, v6, v15, -v5
	v_cvt_f64_f32_e32 v[5:6], v5
	s_delay_alu instid0(VALU_DEP_1) | instskip(NEXT) | instid1(VALU_DEP_1)
	v_mul_f64 v[5:6], v[5:6], s[2:3]
	v_cvt_f32_f64_e32 v5, v[5:6]
	scratch_load_b64 v[6:7], off, off offset:40 ; 8-byte Folded Reload
	global_store_b64 v[0:1], v[4:5], off
	v_add_co_u32 v0, vcc_lo, v0, s5
	v_add_co_ci_u32_e32 v1, vcc_lo, s4, v1, vcc_lo
	s_waitcnt vmcnt(0)
	v_mul_f32_e32 v4, v7, v3
	s_delay_alu instid0(VALU_DEP_1) | instskip(SKIP_1) | instid1(VALU_DEP_2)
	v_fmac_f32_e32 v4, v6, v2
	v_mul_f32_e32 v2, v7, v2
	v_cvt_f64_f32_e32 v[4:5], v4
	s_delay_alu instid0(VALU_DEP_2) | instskip(NEXT) | instid1(VALU_DEP_1)
	v_fma_f32 v2, v6, v3, -v2
	v_cvt_f64_f32_e32 v[2:3], v2
	s_delay_alu instid0(VALU_DEP_3) | instskip(NEXT) | instid1(VALU_DEP_2)
	v_mul_f64 v[4:5], v[4:5], s[2:3]
	v_mul_f64 v[2:3], v[2:3], s[2:3]
	s_delay_alu instid0(VALU_DEP_2) | instskip(NEXT) | instid1(VALU_DEP_2)
	v_cvt_f32_f64_e32 v4, v[4:5]
	v_cvt_f32_f64_e32 v5, v[2:3]
	global_store_b64 v[0:1], v[4:5], off
	scratch_load_b64 v[4:5], off, off offset:48 ; 8-byte Folded Reload
	v_add_co_u32 v0, vcc_lo, v0, s5
	v_add_co_ci_u32_e32 v1, vcc_lo, s4, v1, vcc_lo
	s_waitcnt vmcnt(0)
	v_mul_f32_e32 v2, v5, v19
	s_delay_alu instid0(VALU_DEP_1) | instskip(NEXT) | instid1(VALU_DEP_1)
	v_fmac_f32_e32 v2, v4, v18
	v_cvt_f64_f32_e32 v[2:3], v2
	s_delay_alu instid0(VALU_DEP_1) | instskip(NEXT) | instid1(VALU_DEP_1)
	v_mul_f64 v[2:3], v[2:3], s[2:3]
	v_cvt_f32_f64_e32 v2, v[2:3]
	v_mul_f32_e32 v3, v5, v18
	scratch_load_b64 v[5:6], off, off       ; 8-byte Folded Reload
	v_fma_f32 v3, v4, v19, -v3
	s_delay_alu instid0(VALU_DEP_1) | instskip(NEXT) | instid1(VALU_DEP_1)
	v_cvt_f64_f32_e32 v[3:4], v3
	v_mul_f64 v[3:4], v[3:4], s[2:3]
	s_delay_alu instid0(VALU_DEP_1)
	v_cvt_f32_f64_e32 v3, v[3:4]
	global_store_b64 v[0:1], v[2:3], off
	ds_load_b64 v[2:3], v110 offset:18816
	v_add_co_u32 v0, vcc_lo, v0, s5
	v_add_co_ci_u32_e32 v1, vcc_lo, s4, v1, vcc_lo
	s_waitcnt vmcnt(0) lgkmcnt(0)
	v_mul_f32_e32 v4, v6, v3
	v_mov_b32_e32 v7, v6
	v_mov_b32_e32 v6, v5
	s_delay_alu instid0(VALU_DEP_3) | instskip(NEXT) | instid1(VALU_DEP_3)
	v_fmac_f32_e32 v4, v5, v2
	v_mul_f32_e32 v2, v7, v2
	s_delay_alu instid0(VALU_DEP_2) | instskip(NEXT) | instid1(VALU_DEP_2)
	v_cvt_f64_f32_e32 v[4:5], v4
	v_fma_f32 v2, v6, v3, -v2
	s_delay_alu instid0(VALU_DEP_1) | instskip(NEXT) | instid1(VALU_DEP_3)
	v_cvt_f64_f32_e32 v[2:3], v2
	v_mul_f64 v[4:5], v[4:5], s[2:3]
	s_delay_alu instid0(VALU_DEP_2) | instskip(NEXT) | instid1(VALU_DEP_2)
	v_mul_f64 v[2:3], v[2:3], s[2:3]
	v_cvt_f32_f64_e32 v4, v[4:5]
	s_delay_alu instid0(VALU_DEP_2)
	v_cvt_f32_f64_e32 v5, v[2:3]
	global_store_b64 v[0:1], v[4:5], off
.LBB0_2:
	s_nop 0
	s_sendmsg sendmsg(MSG_DEALLOC_VGPRS)
	s_endpgm
	.section	.rodata,"a",@progbits
	.p2align	6, 0x0
	.amdhsa_kernel bluestein_single_fwd_len2401_dim1_sp_op_CI_CI
		.amdhsa_group_segment_fixed_size 19208
		.amdhsa_private_segment_fixed_size 1016
		.amdhsa_kernarg_size 104
		.amdhsa_user_sgpr_count 15
		.amdhsa_user_sgpr_dispatch_ptr 0
		.amdhsa_user_sgpr_queue_ptr 0
		.amdhsa_user_sgpr_kernarg_segment_ptr 1
		.amdhsa_user_sgpr_dispatch_id 0
		.amdhsa_user_sgpr_private_segment_size 0
		.amdhsa_wavefront_size32 1
		.amdhsa_uses_dynamic_stack 0
		.amdhsa_enable_private_segment 1
		.amdhsa_system_sgpr_workgroup_id_x 1
		.amdhsa_system_sgpr_workgroup_id_y 0
		.amdhsa_system_sgpr_workgroup_id_z 0
		.amdhsa_system_sgpr_workgroup_info 0
		.amdhsa_system_vgpr_workitem_id 0
		.amdhsa_next_free_vgpr 256
		.amdhsa_next_free_sgpr 24
		.amdhsa_reserve_vcc 1
		.amdhsa_float_round_mode_32 0
		.amdhsa_float_round_mode_16_64 0
		.amdhsa_float_denorm_mode_32 3
		.amdhsa_float_denorm_mode_16_64 3
		.amdhsa_dx10_clamp 1
		.amdhsa_ieee_mode 1
		.amdhsa_fp16_overflow 0
		.amdhsa_workgroup_processor_mode 1
		.amdhsa_memory_ordered 1
		.amdhsa_forward_progress 0
		.amdhsa_shared_vgpr_count 0
		.amdhsa_exception_fp_ieee_invalid_op 0
		.amdhsa_exception_fp_denorm_src 0
		.amdhsa_exception_fp_ieee_div_zero 0
		.amdhsa_exception_fp_ieee_overflow 0
		.amdhsa_exception_fp_ieee_underflow 0
		.amdhsa_exception_fp_ieee_inexact 0
		.amdhsa_exception_int_div_zero 0
	.end_amdhsa_kernel
	.text
.Lfunc_end0:
	.size	bluestein_single_fwd_len2401_dim1_sp_op_CI_CI, .Lfunc_end0-bluestein_single_fwd_len2401_dim1_sp_op_CI_CI
                                        ; -- End function
	.section	.AMDGPU.csdata,"",@progbits
; Kernel info:
; codeLenInByte = 51304
; NumSgprs: 26
; NumVgprs: 256
; ScratchSize: 1016
; MemoryBound: 0
; FloatMode: 240
; IeeeMode: 1
; LDSByteSize: 19208 bytes/workgroup (compile time only)
; SGPRBlocks: 3
; VGPRBlocks: 31
; NumSGPRsForWavesPerEU: 26
; NumVGPRsForWavesPerEU: 256
; Occupancy: 3
; WaveLimiterHint : 1
; COMPUTE_PGM_RSRC2:SCRATCH_EN: 1
; COMPUTE_PGM_RSRC2:USER_SGPR: 15
; COMPUTE_PGM_RSRC2:TRAP_HANDLER: 0
; COMPUTE_PGM_RSRC2:TGID_X_EN: 1
; COMPUTE_PGM_RSRC2:TGID_Y_EN: 0
; COMPUTE_PGM_RSRC2:TGID_Z_EN: 0
; COMPUTE_PGM_RSRC2:TIDIG_COMP_CNT: 0
	.text
	.p2alignl 7, 3214868480
	.fill 96, 4, 3214868480
	.type	__hip_cuid_e78b73f17421e0b6,@object ; @__hip_cuid_e78b73f17421e0b6
	.section	.bss,"aw",@nobits
	.globl	__hip_cuid_e78b73f17421e0b6
__hip_cuid_e78b73f17421e0b6:
	.byte	0                               ; 0x0
	.size	__hip_cuid_e78b73f17421e0b6, 1

	.ident	"AMD clang version 19.0.0git (https://github.com/RadeonOpenCompute/llvm-project roc-6.4.0 25133 c7fe45cf4b819c5991fe208aaa96edf142730f1d)"
	.section	".note.GNU-stack","",@progbits
	.addrsig
	.addrsig_sym __hip_cuid_e78b73f17421e0b6
	.amdgpu_metadata
---
amdhsa.kernels:
  - .args:
      - .actual_access:  read_only
        .address_space:  global
        .offset:         0
        .size:           8
        .value_kind:     global_buffer
      - .actual_access:  read_only
        .address_space:  global
        .offset:         8
        .size:           8
        .value_kind:     global_buffer
      - .actual_access:  read_only
        .address_space:  global
        .offset:         16
        .size:           8
        .value_kind:     global_buffer
      - .actual_access:  read_only
        .address_space:  global
        .offset:         24
        .size:           8
        .value_kind:     global_buffer
      - .actual_access:  read_only
        .address_space:  global
        .offset:         32
        .size:           8
        .value_kind:     global_buffer
      - .offset:         40
        .size:           8
        .value_kind:     by_value
      - .address_space:  global
        .offset:         48
        .size:           8
        .value_kind:     global_buffer
      - .address_space:  global
        .offset:         56
        .size:           8
        .value_kind:     global_buffer
      - .address_space:  global
        .offset:         64
        .size:           8
        .value_kind:     global_buffer
      - .address_space:  global
        .offset:         72
        .size:           8
        .value_kind:     global_buffer
      - .offset:         80
        .size:           4
        .value_kind:     by_value
      - .address_space:  global
        .offset:         88
        .size:           8
        .value_kind:     global_buffer
      - .address_space:  global
        .offset:         96
        .size:           8
        .value_kind:     global_buffer
    .group_segment_fixed_size: 19208
    .kernarg_segment_align: 8
    .kernarg_segment_size: 104
    .language:       OpenCL C
    .language_version:
      - 2
      - 0
    .max_flat_workgroup_size: 49
    .name:           bluestein_single_fwd_len2401_dim1_sp_op_CI_CI
    .private_segment_fixed_size: 1016
    .sgpr_count:     26
    .sgpr_spill_count: 0
    .symbol:         bluestein_single_fwd_len2401_dim1_sp_op_CI_CI.kd
    .uniform_work_group_size: 1
    .uses_dynamic_stack: false
    .vgpr_count:     256
    .vgpr_spill_count: 255
    .wavefront_size: 32
    .workgroup_processor_mode: 1
amdhsa.target:   amdgcn-amd-amdhsa--gfx1100
amdhsa.version:
  - 1
  - 2
...

	.end_amdgpu_metadata
